;; amdgpu-corpus repo=ROCm/rocFFT kind=compiled arch=gfx1100 opt=O3
	.text
	.amdgcn_target "amdgcn-amd-amdhsa--gfx1100"
	.amdhsa_code_object_version 6
	.protected	bluestein_single_back_len780_dim1_dp_op_CI_CI ; -- Begin function bluestein_single_back_len780_dim1_dp_op_CI_CI
	.globl	bluestein_single_back_len780_dim1_dp_op_CI_CI
	.p2align	8
	.type	bluestein_single_back_len780_dim1_dp_op_CI_CI,@function
bluestein_single_back_len780_dim1_dp_op_CI_CI: ; @bluestein_single_back_len780_dim1_dp_op_CI_CI
; %bb.0:
	s_load_b128 s[16:19], s[0:1], 0x28
	v_mul_u32_u24_e32 v1, 0x349, v0
	s_mov_b32 s2, exec_lo
	s_delay_alu instid0(VALU_DEP_1) | instskip(NEXT) | instid1(VALU_DEP_1)
	v_lshrrev_b32_e32 v1, 16, v1
	v_mad_u64_u32 v[184:185], null, s15, 3, v[1:2]
	v_mov_b32_e32 v185, 0
                                        ; kill: def $vgpr2 killed $sgpr0 killed $exec
	s_waitcnt lgkmcnt(0)
	s_delay_alu instid0(VALU_DEP_1)
	v_cmpx_gt_u64_e64 s[16:17], v[184:185]
	s_cbranch_execz .LBB0_18
; %bb.1:
	s_clause 0x1
	s_load_b128 s[4:7], s[0:1], 0x18
	s_load_b128 s[8:11], s[0:1], 0x0
	v_mul_lo_u16 v1, 0x4e, v1
	v_mul_hi_u32 v21, 0xaaaaaaab, v184
	s_delay_alu instid0(VALU_DEP_2) | instskip(NEXT) | instid1(VALU_DEP_2)
	v_sub_nc_u16 v0, v0, v1
	v_lshrrev_b32_e32 v21, 1, v21
	s_delay_alu instid0(VALU_DEP_2)
	v_and_b32_e32 v255, 0xffff, v0
	s_waitcnt lgkmcnt(0)
	s_load_b128 s[12:15], s[4:5], 0x0
	s_waitcnt lgkmcnt(0)
	v_mad_u64_u32 v[1:2], null, s14, v184, 0
	v_mad_u64_u32 v[3:4], null, s12, v255, 0
	s_mul_hi_u32 s3, s12, 0x1860
	s_mul_i32 s4, s12, 0x1860
	s_mul_i32 s5, s13, 0xffffec80
	;; [unrolled: 1-line block ×3, first 2 shown]
	s_delay_alu instid0(VALU_DEP_1) | instskip(NEXT) | instid1(VALU_DEP_1)
	v_mad_u64_u32 v[5:6], null, s15, v184, v[2:3]
	v_mov_b32_e32 v2, v5
	v_lshlrev_b32_e32 v174, 4, v255
	v_mad_u64_u32 v[6:7], null, s13, v255, v[4:5]
	s_clause 0x3
	global_load_b128 v[22:25], v174, s[8:9]
	global_load_b128 v[100:103], v174, s[8:9] offset:1248
	global_load_b128 v[104:107], v174, s[8:9] offset:2496
	;; [unrolled: 1-line block ×3, first 2 shown]
	v_add_co_u32 v8, s2, s8, v174
	s_delay_alu instid0(VALU_DEP_1) | instskip(SKIP_1) | instid1(VALU_DEP_3)
	v_add_co_ci_u32_e64 v9, null, s9, 0, s2
	v_mov_b32_e32 v4, v6
	v_add_co_u32 v32, vcc_lo, 0x1000, v8
	v_lshlrev_b64 v[1:2], 4, v[1:2]
	s_delay_alu instid0(VALU_DEP_4)
	v_add_co_ci_u32_e32 v33, vcc_lo, 0, v9, vcc_lo
	v_add_co_u32 v36, vcc_lo, 0x2000, v8
	v_add_co_ci_u32_e32 v37, vcc_lo, 0, v9, vcc_lo
	v_lshlrev_b64 v[3:4], 4, v[3:4]
	v_add_co_u32 v1, vcc_lo, s18, v1
	v_add_co_ci_u32_e32 v2, vcc_lo, s19, v2, vcc_lo
	s_mul_i32 s2, s13, 0x1860
	s_delay_alu instid0(VALU_DEP_2) | instskip(NEXT) | instid1(VALU_DEP_2)
	v_add_co_u32 v1, vcc_lo, v1, v3
	v_add_co_ci_u32_e32 v2, vcc_lo, v2, v4, vcc_lo
	s_add_i32 s3, s3, s2
	s_delay_alu instid0(VALU_DEP_2) | instskip(SKIP_1) | instid1(VALU_DEP_2)
	v_add_co_u32 v5, vcc_lo, v1, s4
	s_mul_hi_u32 s13, s12, 0xffffec80
	v_add_co_ci_u32_e32 v6, vcc_lo, s3, v2, vcc_lo
	s_sub_i32 s2, s13, s12
	s_delay_alu instid0(VALU_DEP_2)
	v_add_co_u32 v9, vcc_lo, v5, s14
	s_add_i32 s2, s2, s5
	s_clause 0x1
	global_load_b128 v[112:115], v[32:33], off offset:2144
	global_load_b128 v[120:123], v[32:33], off offset:3392
	v_add_co_ci_u32_e32 v10, vcc_lo, s2, v6, vcc_lo
	v_add_co_u32 v13, vcc_lo, v9, s4
	s_clause 0x1
	global_load_b128 v[116:119], v[36:37], off offset:544
	global_load_b128 v[124:127], v[36:37], off offset:1792
	v_add_co_ci_u32_e32 v14, vcc_lo, s3, v10, vcc_lo
	v_add_co_u32 v17, vcc_lo, v13, s14
	s_clause 0x1
	global_load_b128 v[1:4], v[1:2], off
	global_load_b128 v[5:8], v[5:6], off
	v_add_co_ci_u32_e32 v18, vcc_lo, s2, v14, vcc_lo
	v_add_co_u32 v34, vcc_lo, v17, s4
	s_clause 0x1
	global_load_b128 v[9:12], v[9:10], off
	global_load_b128 v[13:16], v[13:14], off
	v_add_co_ci_u32_e32 v35, vcc_lo, s3, v18, vcc_lo
	v_add_co_u32 v38, vcc_lo, v34, s14
	global_load_b128 v[17:20], v[17:18], off
	v_add_co_ci_u32_e32 v39, vcc_lo, s2, v35, vcc_lo
	v_add_co_u32 v48, vcc_lo, v38, s4
	;; [unrolled: 3-line block ×4, first 2 shown]
	s_delay_alu instid0(VALU_DEP_2)
	v_add_co_ci_u32_e32 v57, vcc_lo, s3, v53, vcc_lo
	global_load_b128 v[48:51], v[48:49], off
	global_load_b128 v[30:33], v[32:33], off offset:896
	global_load_b128 v[52:55], v[52:53], off
	global_load_b128 v[34:37], v[36:37], off offset:3040
	global_load_b128 v[56:59], v[56:57], off
	s_load_b128 s[4:7], s[6:7], 0x0
	s_load_b64 s[2:3], s[0:1], 0x38
	v_cmp_gt_u16_e32 vcc_lo, 26, v0
	s_waitcnt vmcnt(19)
	scratch_store_b128 off, v[22:25], off   ; 16-byte Folded Spill
	s_waitcnt vmcnt(18)
	scratch_store_b128 off, v[100:103], off offset:16 ; 16-byte Folded Spill
	s_waitcnt vmcnt(17)
	scratch_store_b128 off, v[104:107], off offset:32 ; 16-byte Folded Spill
	;; [unrolled: 2-line block ×7, first 2 shown]
	s_waitcnt vmcnt(11)
	v_mul_f64 v[60:61], v[3:4], v[24:25]
	v_mul_f64 v[62:63], v[1:2], v[24:25]
	s_waitcnt vmcnt(10)
	v_mul_f64 v[64:65], v[7:8], v[114:115]
	v_mul_f64 v[66:67], v[5:6], v[114:115]
	;; [unrolled: 3-line block ×10, first 2 shown]
	s_clause 0x1
	scratch_store_b128 off, v[30:33], off offset:128
	scratch_store_b128 off, v[34:37], off offset:144
	v_fma_f64 v[1:2], v[1:2], v[22:23], v[60:61]
	v_fma_f64 v[3:4], v[3:4], v[22:23], -v[62:63]
	v_fma_f64 v[5:6], v[5:6], v[112:113], v[64:65]
	v_fma_f64 v[7:8], v[7:8], v[112:113], -v[66:67]
	v_fma_f64 v[9:10], v[9:10], v[100:101], v[68:69]
	v_fma_f64 v[11:12], v[11:12], v[100:101], -v[70:71]
	v_fma_f64 v[13:14], v[13:14], v[120:121], v[72:73]
	v_fma_f64 v[15:16], v[15:16], v[120:121], -v[74:75]
	v_fma_f64 v[60:61], v[17:18], v[104:105], v[76:77]
	v_fma_f64 v[62:63], v[19:20], v[104:105], -v[78:79]
	v_lshl_add_u32 v17, v21, 1, v21
	v_fma_f64 v[40:41], v[40:41], v[116:117], v[80:81]
	v_fma_f64 v[42:43], v[42:43], v[116:117], -v[82:83]
	s_delay_alu instid0(VALU_DEP_3) | instskip(SKIP_2) | instid1(VALU_DEP_3)
	v_sub_nc_u32_e32 v17, v184, v17
	v_fma_f64 v[44:45], v[44:45], v[108:109], v[84:85]
	v_fma_f64 v[46:47], v[46:47], v[108:109], -v[86:87]
	v_mul_u32_u24_e32 v175, 0x30c, v17
	v_fma_f64 v[48:49], v[48:49], v[124:125], v[88:89]
	v_fma_f64 v[50:51], v[50:51], v[124:125], -v[90:91]
	v_fma_f64 v[52:53], v[52:53], v[30:31], v[92:93]
	v_fma_f64 v[54:55], v[54:55], v[30:31], -v[94:95]
	;; [unrolled: 2-line block ×3, first 2 shown]
	v_lshlrev_b32_e32 v187, 4, v175
                                        ; implicit-def: $vgpr88_vgpr89
                                        ; implicit-def: $vgpr92_vgpr93
	s_delay_alu instid0(VALU_DEP_1)
	v_add_nc_u32_e32 v20, v174, v187
	v_lshl_add_u32 v23, v255, 5, v187
	ds_store_b128 v20, v[1:4]
	ds_store_b128 v20, v[9:12] offset:1248
	ds_store_b128 v20, v[13:16] offset:7488
	ds_store_b128 v20, v[40:43] offset:8736
	ds_store_b128 v20, v[60:63] offset:2496
	ds_store_b128 v20, v[44:47] offset:3744
	ds_store_b128 v20, v[5:8] offset:6240
	ds_store_b128 v20, v[52:55] offset:4992
	ds_store_b128 v20, v[48:51] offset:9984
	ds_store_b128 v20, v[56:59] offset:11232
	s_waitcnt lgkmcnt(0)
	s_waitcnt_vscnt null, 0x0
	s_barrier
	buffer_gl0_inv
	ds_load_b128 v[1:4], v20 offset:6240
	ds_load_b128 v[5:8], v20
	ds_load_b128 v[9:12], v20 offset:1248
	ds_load_b128 v[13:16], v20 offset:7488
	ds_load_b128 v[40:43], v20 offset:8736
	ds_load_b128 v[44:47], v20 offset:2496
	ds_load_b128 v[48:51], v20 offset:3744
	ds_load_b128 v[52:55], v20 offset:9984
	ds_load_b128 v[56:59], v20 offset:4992
	ds_load_b128 v[60:63], v20 offset:11232
	s_waitcnt lgkmcnt(0)
	s_barrier
	buffer_gl0_inv
	v_add_f64 v[64:65], v[5:6], -v[1:2]
	v_add_f64 v[66:67], v[7:8], -v[3:4]
	;; [unrolled: 1-line block ×10, first 2 shown]
	v_lshlrev_b16 v1, 1, v0
	v_add_co_u32 v3, null, 0x4e, v255
	v_add_co_u32 v2, null, 0x9c, v255
	s_delay_alu instid0(VALU_DEP_2) | instskip(NEXT) | instid1(VALU_DEP_2)
	v_lshl_add_u32 v192, v3, 5, v187
	v_lshl_add_u32 v29, v2, 5, v187
	v_fma_f64 v[4:5], v[5:6], 2.0, -v[64:65]
	v_fma_f64 v[6:7], v[7:8], 2.0, -v[66:67]
	v_fma_f64 v[8:9], v[9:10], 2.0, -v[13:14]
	v_fma_f64 v[10:11], v[11:12], 2.0, -v[15:16]
	v_fma_f64 v[44:45], v[44:45], 2.0, -v[68:69]
	v_fma_f64 v[46:47], v[46:47], 2.0, -v[70:71]
	v_fma_f64 v[48:49], v[48:49], 2.0, -v[52:53]
	v_fma_f64 v[50:51], v[50:51], 2.0, -v[54:55]
	v_fma_f64 v[56:57], v[56:57], 2.0, -v[40:41]
	v_fma_f64 v[58:59], v[58:59], 2.0, -v[42:43]
	v_and_b32_e32 v12, 0xffff, v1
	v_add_co_u32 v1, null, 0xea, v255
	s_delay_alu instid0(VALU_DEP_2) | instskip(NEXT) | instid1(VALU_DEP_2)
	v_lshl_add_u32 v12, v12, 4, v187
	v_lshl_add_u32 v191, v1, 5, v187
	scratch_store_b32 off, v12, off offset:168 ; 4-byte Folded Spill
	ds_store_b128 v12, v[4:7]
	ds_store_b128 v12, v[64:67] offset:16
	ds_store_b128 v192, v[8:11]
	ds_store_b128 v192, v[13:16] offset:16
	;; [unrolled: 2-line block ×4, first 2 shown]
	ds_store_b128 v23, v[56:59] offset:9984
	ds_store_b128 v23, v[40:43] offset:10000
	s_waitcnt lgkmcnt(0)
	s_waitcnt_vscnt null, 0x0
	s_barrier
	buffer_gl0_inv
	ds_load_b128 v[56:59], v20
	ds_load_b128 v[52:55], v20 offset:1248
	ds_load_b128 v[76:79], v20 offset:8320
	ds_load_b128 v[64:67], v20 offset:9568
	ds_load_b128 v[84:87], v20 offset:4160
	ds_load_b128 v[60:63], v20 offset:2496
	ds_load_b128 v[80:83], v20 offset:5408
	ds_load_b128 v[68:71], v20 offset:6656
	ds_load_b128 v[72:75], v20 offset:10816
	s_and_saveexec_b32 s0, vcc_lo
	s_cbranch_execz .LBB0_3
; %bb.2:
	ds_load_b128 v[40:43], v20 offset:3744
	ds_load_b128 v[88:91], v20 offset:7904
	;; [unrolled: 1-line block ×3, first 2 shown]
.LBB0_3:
	s_or_b32 exec_lo, exec_lo, s0
	v_and_b32_e32 v188, 1, v255
	s_mov_b32 s0, 0xe8584caa
	s_mov_b32 s1, 0x3febb67a
	;; [unrolled: 1-line block ×4, first 2 shown]
	v_lshlrev_b32_e32 v0, 5, v188
	v_lshrrev_b32_e32 v3, 1, v3
	v_lshrrev_b32_e32 v2, 1, v2
	v_lshrrev_b32_e32 v1, 1, v1
	s_clause 0x1
	global_load_b128 v[48:51], v0, s[10:11]
	global_load_b128 v[44:47], v0, s[10:11] offset:16
	v_lshrrev_b32_e32 v0, 1, v255
	v_mul_u32_u24_e32 v3, 6, v3
	v_mul_u32_u24_e32 v2, 6, v2
	scratch_store_b32 off, v1, off offset:172 ; 4-byte Folded Spill
	s_waitcnt vmcnt(0) lgkmcnt(0)
	s_waitcnt_vscnt null, 0x0
	v_mul_u32_u24_e32 v0, 6, v0
	v_or_b32_e32 v1, v3, v188
	v_or_b32_e32 v2, v2, v188
	s_barrier
	buffer_gl0_inv
	v_or_b32_e32 v0, v0, v188
	v_lshl_add_u32 v1, v1, 4, v187
	s_delay_alu instid0(VALU_DEP_2)
	v_lshl_add_u32 v3, v0, 4, v187
	v_lshl_add_u32 v0, v2, 4, v187
	v_mul_f64 v[4:5], v[86:87], v[50:51]
	v_mul_f64 v[6:7], v[78:79], v[46:47]
	;; [unrolled: 1-line block ×16, first 2 shown]
	v_fma_f64 v[4:5], v[84:85], v[48:49], -v[4:5]
	v_fma_f64 v[6:7], v[76:77], v[44:45], -v[6:7]
	v_fma_f64 v[8:9], v[86:87], v[48:49], v[8:9]
	v_fma_f64 v[10:11], v[78:79], v[44:45], v[10:11]
	v_fma_f64 v[12:13], v[80:81], v[48:49], -v[12:13]
	v_fma_f64 v[14:15], v[64:65], v[44:45], -v[14:15]
	v_fma_f64 v[16:17], v[82:83], v[48:49], v[16:17]
	v_fma_f64 v[18:19], v[66:67], v[44:45], v[18:19]
	;; [unrolled: 4-line block ×4, first 2 shown]
	v_add_f64 v[96:97], v[56:57], v[4:5]
	v_add_f64 v[80:81], v[4:5], v[6:7]
	v_add_f64 v[4:5], v[4:5], -v[6:7]
	v_add_f64 v[82:83], v[8:9], v[10:11]
	v_add_f64 v[100:101], v[8:9], -v[10:11]
	v_add_f64 v[84:85], v[12:13], v[14:15]
	v_add_f64 v[8:9], v[58:59], v[8:9]
	v_add_f64 v[86:87], v[16:17], v[18:19]
	v_add_f64 v[98:99], v[52:53], v[12:13]
	v_add_f64 v[88:89], v[64:65], v[66:67]
	v_add_f64 v[102:103], v[54:55], v[16:17]
	v_add_f64 v[90:91], v[68:69], v[72:73]
	v_add_f64 v[104:105], v[60:61], v[64:65]
	v_add_f64 v[92:93], v[70:71], v[74:75]
	v_add_f64 v[106:107], v[62:63], v[68:69]
	v_add_f64 v[94:95], v[76:77], v[78:79]
	v_add_f64 v[108:109], v[40:41], v[70:71]
	v_add_f64 v[110:111], v[42:43], v[76:77]
	v_add_f64 v[16:17], v[16:17], -v[18:19]
	v_add_f64 v[12:13], v[12:13], -v[14:15]
	;; [unrolled: 1-line block ×6, first 2 shown]
	v_fma_f64 v[56:57], v[80:81], -0.5, v[56:57]
	v_fma_f64 v[58:59], v[82:83], -0.5, v[58:59]
	;; [unrolled: 1-line block ×4, first 2 shown]
	v_add_f64 v[68:69], v[98:99], v[14:15]
	v_fma_f64 v[60:61], v[88:89], -0.5, v[60:61]
	v_add_f64 v[70:71], v[102:103], v[18:19]
	v_fma_f64 v[62:63], v[90:91], -0.5, v[62:63]
	v_fma_f64 v[40:41], v[92:93], -0.5, v[40:41]
	v_add_f64 v[92:93], v[96:97], v[6:7]
	v_fma_f64 v[42:43], v[94:95], -0.5, v[42:43]
	v_add_f64 v[94:95], v[8:9], v[10:11]
	v_add_f64 v[96:97], v[104:105], v[66:67]
	;; [unrolled: 1-line block ×5, first 2 shown]
	v_fma_f64 v[52:53], v[100:101], s[0:1], v[56:57]
	v_fma_f64 v[64:65], v[100:101], s[12:13], v[56:57]
	;; [unrolled: 1-line block ×16, first 2 shown]
	ds_store_b128 v3, v[92:95]
	ds_store_b128 v3, v[52:55] offset:32
	scratch_store_b32 off, v3, off offset:184 ; 4-byte Folded Spill
	ds_store_b128 v3, v[64:67] offset:64
	ds_store_b128 v1, v[68:71]
	ds_store_b128 v1, v[80:83] offset:32
	scratch_store_b32 off, v1, off offset:180 ; 4-byte Folded Spill
	ds_store_b128 v1, v[84:87] offset:64
	;; [unrolled: 4-line block ×3, first 2 shown]
	s_and_saveexec_b32 s0, vcc_lo
	s_cbranch_execz .LBB0_5
; %bb.4:
	scratch_load_b32 v0, off, off offset:172 ; 4-byte Folded Reload
	s_waitcnt vmcnt(0)
	v_mul_u32_u24_e32 v0, 6, v0
	s_delay_alu instid0(VALU_DEP_1) | instskip(NEXT) | instid1(VALU_DEP_1)
	v_or_b32_e32 v0, v0, v188
	v_lshl_add_u32 v0, v0, 4, v187
	ds_store_b128 v0, v[88:91]
	ds_store_b128 v0, v[104:107] offset:32
	ds_store_b128 v0, v[72:75] offset:64
.LBB0_5:
	s_or_b32 exec_lo, exec_lo, s0
	v_cmp_gt_u16_e64 s0, 60, v255
	s_waitcnt lgkmcnt(0)
	s_waitcnt_vscnt null, 0x0
	s_barrier
	buffer_gl0_inv
                                        ; implicit-def: $vgpr76_vgpr77
	s_and_saveexec_b32 s1, s0
	s_cbranch_execz .LBB0_7
; %bb.6:
	ds_load_b128 v[92:95], v20
	ds_load_b128 v[52:55], v20 offset:960
	ds_load_b128 v[64:67], v20 offset:1920
	;; [unrolled: 1-line block ×12, first 2 shown]
.LBB0_7:
	s_or_b32 exec_lo, exec_lo, s1
	v_and_b32_e32 v0, 0xff, v255
	s_mov_b32 s18, 0x4267c47c
	s_mov_b32 s19, 0xbfddbe06
	;; [unrolled: 1-line block ×4, first 2 shown]
	v_mul_lo_u16 v0, 0xab, v0
	s_mov_b32 s15, 0x3fec55a7
	s_mov_b32 s17, 0xbfea55e2
	;; [unrolled: 1-line block ×4, first 2 shown]
	v_lshrrev_b16 v21, 10, v0
	s_mov_b32 s24, 0x66966769
	s_mov_b32 s25, 0xbfefc445
	;; [unrolled: 1-line block ×4, first 2 shown]
	v_mul_lo_u16 v0, v21, 6
	s_mov_b32 s28, 0x2ef20147
	s_mov_b32 s29, 0xbfedeba7
	;; [unrolled: 1-line block ×4, first 2 shown]
	v_sub_nc_u16 v0, v255, v0
	s_mov_b32 s38, 0x24c2f84
	s_mov_b32 s39, 0x3fe5384d
	;; [unrolled: 1-line block ×4, first 2 shown]
	v_and_b32_e32 v2, 0xff, v0
	s_mov_b32 s26, 0xd0032e0c
	s_mov_b32 s27, 0xbfe7f3cc
	;; [unrolled: 1-line block ×4, first 2 shown]
	v_mad_u64_u32 v[0:1], null, 0xc0, v2, s[10:11]
	scratch_store_b32 off, v2, off offset:160 ; 4-byte Folded Spill
	s_mov_b32 s30, 0x93053d00
	s_mov_b32 s31, 0xbfef11f4
	;; [unrolled: 1-line block ×5, first 2 shown]
	s_clause 0x1
	global_load_b128 v[40:43], v[0:1], off offset:64
	global_load_b128 v[56:59], v[0:1], off offset:80
	s_mov_b32 s42, s18
	s_mov_b32 s45, 0x3fedeba7
	s_mov_b32 s44, s28
	v_add_nc_u32_e32 v22, 0x2700, v23
	v_and_b32_e32 v21, 0xffff, v21
	s_waitcnt vmcnt(1) lgkmcnt(11)
	v_mul_f64 v[2:3], v[54:55], v[42:43]
	s_delay_alu instid0(VALU_DEP_1) | instskip(SKIP_1) | instid1(VALU_DEP_1)
	v_fma_f64 v[203:204], v[52:53], v[40:41], -v[2:3]
	v_mul_f64 v[2:3], v[52:53], v[42:43]
	v_fma_f64 v[207:208], v[54:55], v[40:41], v[2:3]
	s_clause 0x1
	global_load_b128 v[52:55], v[0:1], off offset:240
	global_load_b128 v[60:63], v[0:1], off offset:224
	s_waitcnt vmcnt(1) lgkmcnt(0)
	v_mul_f64 v[2:3], v[76:77], v[54:55]
	s_delay_alu instid0(VALU_DEP_1) | instskip(SKIP_1) | instid1(VALU_DEP_2)
	v_fma_f64 v[26:27], v[78:79], v[52:53], v[2:3]
	v_mul_f64 v[2:3], v[78:79], v[54:55]
	v_add_f64 v[162:163], v[207:208], -v[26:27]
	s_delay_alu instid0(VALU_DEP_2) | instskip(SKIP_2) | instid1(VALU_DEP_4)
	v_fma_f64 v[30:31], v[76:77], v[52:53], -v[2:3]
	v_mul_f64 v[2:3], v[66:67], v[58:59]
	v_add_f64 v[166:167], v[207:208], v[26:27]
	v_mul_f64 v[6:7], v[162:163], s[18:19]
	s_delay_alu instid0(VALU_DEP_4) | instskip(NEXT) | instid1(VALU_DEP_4)
	v_add_f64 v[4:5], v[203:204], v[30:31]
	v_fma_f64 v[118:119], v[64:65], v[56:57], -v[2:3]
	v_mul_f64 v[2:3], v[64:65], v[58:59]
	v_add_f64 v[10:11], v[203:204], -v[30:31]
	s_delay_alu instid0(VALU_DEP_2) | instskip(SKIP_2) | instid1(VALU_DEP_3)
	v_fma_f64 v[120:121], v[66:67], v[56:57], v[2:3]
	s_waitcnt vmcnt(0)
	v_mul_f64 v[2:3], v[72:73], v[62:63]
	v_mul_f64 v[8:9], v[10:11], s[18:19]
	;; [unrolled: 1-line block ×4, first 2 shown]
	s_delay_alu instid0(VALU_DEP_4) | instskip(SKIP_1) | instid1(VALU_DEP_2)
	v_fma_f64 v[32:33], v[74:75], v[60:61], v[2:3]
	v_mul_f64 v[2:3], v[74:75], v[62:63]
	v_add_f64 v[168:169], v[120:121], -v[32:33]
	s_delay_alu instid0(VALU_DEP_2)
	v_fma_f64 v[34:35], v[72:73], v[60:61], -v[2:3]
	s_clause 0x1
	global_load_b128 v[64:67], v[0:1], off offset:96
	global_load_b128 v[72:75], v[0:1], off offset:112
	v_add_f64 v[160:161], v[120:121], v[32:33]
	v_mul_f64 v[36:37], v[168:169], s[16:17]
	v_add_f64 v[170:171], v[118:119], -v[34:35]
	v_mul_f64 v[233:234], v[168:169], s[28:29]
	v_mul_f64 v[235:236], v[168:169], s[36:37]
	s_delay_alu instid0(VALU_DEP_3) | instskip(SKIP_2) | instid1(VALU_DEP_3)
	v_mul_f64 v[38:39], v[170:171], s[16:17]
	v_mul_f64 v[223:224], v[170:171], s[28:29]
	;; [unrolled: 1-line block ×3, first 2 shown]
	v_fma_f64 v[12:13], v[160:161], s[12:13], -v[38:39]
	s_delay_alu instid0(VALU_DEP_3) | instskip(NEXT) | instid1(VALU_DEP_3)
	v_fma_f64 v[16:17], v[160:161], s[22:23], -v[223:224]
	v_fma_f64 v[140:141], v[160:161], s[30:31], -v[241:242]
	s_waitcnt vmcnt(1)
	v_mul_f64 v[2:3], v[70:71], v[66:67]
	s_delay_alu instid0(VALU_DEP_1) | instskip(SKIP_1) | instid1(VALU_DEP_1)
	v_fma_f64 v[128:129], v[68:69], v[64:65], -v[2:3]
	v_mul_f64 v[2:3], v[68:69], v[66:67]
	v_fma_f64 v[130:131], v[70:71], v[64:65], v[2:3]
	s_clause 0x1
	global_load_b128 v[68:71], v[0:1], off offset:208
	global_load_b128 v[76:79], v[0:1], off offset:192
	s_waitcnt vmcnt(1)
	v_mul_f64 v[2:3], v[106:107], v[70:71]
	s_delay_alu instid0(VALU_DEP_1) | instskip(SKIP_1) | instid1(VALU_DEP_2)
	v_fma_f64 v[132:133], v[104:105], v[68:69], -v[2:3]
	v_mul_f64 v[2:3], v[104:105], v[70:71]
	v_add_f64 v[164:165], v[128:129], v[132:133]
	s_delay_alu instid0(VALU_DEP_2) | instskip(SKIP_2) | instid1(VALU_DEP_3)
	v_fma_f64 v[134:135], v[106:107], v[68:69], v[2:3]
	v_mul_f64 v[2:3], v[82:83], v[74:75]
	v_add_f64 v[182:183], v[128:129], -v[132:133]
	v_add_f64 v[180:181], v[130:131], -v[134:135]
	s_delay_alu instid0(VALU_DEP_3)
	v_fma_f64 v[148:149], v[80:81], v[72:73], -v[2:3]
	v_mul_f64 v[2:3], v[80:81], v[74:75]
	v_add_f64 v[176:177], v[130:131], v[134:135]
	v_mul_f64 v[124:125], v[182:183], s[24:25]
	v_mul_f64 v[221:222], v[182:183], s[36:37]
	;; [unrolled: 1-line block ×5, first 2 shown]
	v_fma_f64 v[150:151], v[82:83], v[72:73], v[2:3]
	s_waitcnt vmcnt(0)
	v_mul_f64 v[2:3], v[90:91], v[78:79]
	v_mul_f64 v[243:244], v[180:181], s[44:45]
	s_delay_alu instid0(VALU_DEP_2) | instskip(SKIP_1) | instid1(VALU_DEP_2)
	v_fma_f64 v[144:145], v[88:89], v[76:77], -v[2:3]
	v_mul_f64 v[2:3], v[88:89], v[78:79]
	v_add_f64 v[172:173], v[148:149], v[144:145]
	s_delay_alu instid0(VALU_DEP_2)
	v_fma_f64 v[146:147], v[90:91], v[76:77], v[2:3]
	s_clause 0x1
	global_load_b128 v[80:83], v[0:1], off offset:128
	global_load_b128 v[88:91], v[0:1], off offset:144
	v_add_f64 v[193:194], v[148:149], -v[144:145]
	v_add_f64 v[205:206], v[150:151], -v[146:147]
	v_add_f64 v[185:186], v[150:151], v[146:147]
	s_delay_alu instid0(VALU_DEP_3)
	v_mul_f64 v[126:127], v[193:194], s[28:29]
	v_mul_f64 v[231:232], v[193:194], s[38:39]
	;; [unrolled: 1-line block ×6, first 2 shown]
	s_waitcnt vmcnt(1)
	v_mul_f64 v[2:3], v[86:87], v[82:83]
	s_delay_alu instid0(VALU_DEP_1) | instskip(SKIP_1) | instid1(VALU_DEP_1)
	v_fma_f64 v[152:153], v[84:85], v[80:81], -v[2:3]
	v_mul_f64 v[2:3], v[84:85], v[82:83]
	v_fma_f64 v[154:155], v[86:87], v[80:81], v[2:3]
	s_clause 0x1
	global_load_b128 v[84:87], v[0:1], off offset:176
	global_load_b128 v[104:107], v[0:1], off offset:160
	s_clause 0x1
	scratch_store_b32 off, v22, off offset:188
	scratch_store_b32 off, v21, off offset:164
	s_waitcnt vmcnt(0)
	s_waitcnt_vscnt null, 0x0
	s_barrier
	buffer_gl0_inv
	v_mul_f64 v[0:1], v[110:111], v[86:87]
	s_delay_alu instid0(VALU_DEP_1) | instskip(SKIP_1) | instid1(VALU_DEP_2)
	v_fma_f64 v[156:157], v[108:109], v[84:85], -v[0:1]
	v_mul_f64 v[0:1], v[108:109], v[86:87]
	v_add_f64 v[189:190], v[152:153], v[156:157]
	s_delay_alu instid0(VALU_DEP_2) | instskip(SKIP_2) | instid1(VALU_DEP_3)
	v_fma_f64 v[108:109], v[110:111], v[84:85], v[0:1]
	v_mul_f64 v[0:1], v[98:99], v[90:91]
	v_add_f64 v[213:214], v[152:153], -v[156:157]
	v_add_f64 v[215:216], v[154:155], -v[108:109]
	s_delay_alu instid0(VALU_DEP_3)
	v_fma_f64 v[110:111], v[96:97], v[88:89], -v[0:1]
	v_mul_f64 v[0:1], v[96:97], v[90:91]
	v_add_f64 v[199:200], v[154:155], v[108:109]
	v_mul_f64 v[201:202], v[213:214], s[34:35]
	v_mul_f64 v[239:240], v[213:214], s[40:41]
	;; [unrolled: 1-line block ×4, first 2 shown]
	v_fma_f64 v[98:99], v[98:99], v[88:89], v[0:1]
	v_mul_f64 v[0:1], v[102:103], v[106:107]
	v_mul_f64 v[249:250], v[215:216], s[16:17]
	s_delay_alu instid0(VALU_DEP_2) | instskip(SKIP_1) | instid1(VALU_DEP_2)
	v_fma_f64 v[96:97], v[100:101], v[104:105], -v[0:1]
	v_mul_f64 v[0:1], v[100:101], v[106:107]
	v_add_f64 v[195:196], v[110:111], v[96:97]
	s_delay_alu instid0(VALU_DEP_2) | instskip(SKIP_3) | instid1(VALU_DEP_4)
	v_fma_f64 v[100:101], v[102:103], v[104:105], v[0:1]
	v_fma_f64 v[0:1], v[4:5], s[14:15], v[6:7]
	v_add_f64 v[102:103], v[118:119], v[34:35]
	v_add_f64 v[217:218], v[110:111], -v[96:97]
	v_add_f64 v[219:220], v[98:99], -v[100:101]
	s_delay_alu instid0(VALU_DEP_4) | instskip(NEXT) | instid1(VALU_DEP_4)
	v_add_f64 v[0:1], v[92:93], v[0:1]
	v_fma_f64 v[2:3], v[102:103], s[12:13], v[36:37]
	v_add_f64 v[209:210], v[98:99], v[100:101]
	v_mul_f64 v[211:212], v[217:218], s[36:37]
	v_mul_f64 v[245:246], v[217:218], s[42:43]
	;; [unrolled: 1-line block ×4, first 2 shown]
	v_add_f64 v[0:1], v[2:3], v[0:1]
	v_fma_f64 v[2:3], v[166:167], s[14:15], -v[8:9]
	v_mul_f64 v[251:252], v[219:220], s[34:35]
	s_delay_alu instid0(VALU_DEP_2) | instskip(NEXT) | instid1(VALU_DEP_1)
	v_add_f64 v[2:3], v[94:95], v[2:3]
	v_add_f64 v[2:3], v[12:13], v[2:3]
	v_fma_f64 v[12:13], v[164:165], s[20:21], v[116:117]
	s_delay_alu instid0(VALU_DEP_1) | instskip(SKIP_1) | instid1(VALU_DEP_1)
	v_add_f64 v[0:1], v[12:13], v[0:1]
	v_fma_f64 v[12:13], v[176:177], s[20:21], -v[124:125]
	v_add_f64 v[2:3], v[12:13], v[2:3]
	v_fma_f64 v[12:13], v[172:173], s[22:23], v[122:123]
	s_delay_alu instid0(VALU_DEP_1) | instskip(SKIP_1) | instid1(VALU_DEP_1)
	v_add_f64 v[0:1], v[12:13], v[0:1]
	v_fma_f64 v[12:13], v[185:186], s[22:23], -v[126:127]
	;; [unrolled: 5-line block ×3, first 2 shown]
	v_add_f64 v[2:3], v[12:13], v[2:3]
	v_fma_f64 v[12:13], v[195:196], s[30:31], v[197:198]
	s_delay_alu instid0(VALU_DEP_1) | instskip(SKIP_2) | instid1(VALU_DEP_2)
	v_add_f64 v[112:113], v[12:13], v[0:1]
	v_fma_f64 v[0:1], v[209:210], s[30:31], -v[211:212]
	v_mul_f64 v[12:13], v[162:163], s[16:17]
	v_add_f64 v[114:115], v[0:1], v[2:3]
	s_delay_alu instid0(VALU_DEP_2) | instskip(SKIP_1) | instid1(VALU_DEP_2)
	v_fma_f64 v[0:1], v[4:5], s[12:13], v[12:13]
	v_fma_f64 v[2:3], v[102:103], s[22:23], v[233:234]
	v_add_f64 v[0:1], v[92:93], v[0:1]
	s_delay_alu instid0(VALU_DEP_1) | instskip(SKIP_1) | instid1(VALU_DEP_1)
	v_add_f64 v[0:1], v[2:3], v[0:1]
	v_fma_f64 v[2:3], v[166:167], s[12:13], -v[14:15]
	v_add_f64 v[2:3], v[94:95], v[2:3]
	s_delay_alu instid0(VALU_DEP_1) | instskip(SKIP_1) | instid1(VALU_DEP_1)
	v_add_f64 v[2:3], v[16:17], v[2:3]
	v_fma_f64 v[16:17], v[164:165], s[30:31], v[225:226]
	v_add_f64 v[0:1], v[16:17], v[0:1]
	v_fma_f64 v[16:17], v[176:177], s[30:31], -v[221:222]
	s_delay_alu instid0(VALU_DEP_1) | instskip(SKIP_1) | instid1(VALU_DEP_1)
	v_add_f64 v[2:3], v[16:17], v[2:3]
	v_fma_f64 v[16:17], v[172:173], s[26:27], v[227:228]
	v_add_f64 v[0:1], v[16:17], v[0:1]
	v_fma_f64 v[16:17], v[185:186], s[26:27], -v[231:232]
	;; [unrolled: 5-line block ×4, first 2 shown]
	v_mul_f64 v[16:17], v[162:163], s[24:25]
	s_delay_alu instid0(VALU_DEP_2) | instskip(NEXT) | instid1(VALU_DEP_2)
	v_add_f64 v[138:139], v[0:1], v[2:3]
	v_fma_f64 v[0:1], v[4:5], s[20:21], v[16:17]
	v_fma_f64 v[2:3], v[102:103], s[30:31], v[235:236]
	s_delay_alu instid0(VALU_DEP_2) | instskip(NEXT) | instid1(VALU_DEP_1)
	v_add_f64 v[0:1], v[92:93], v[0:1]
	v_add_f64 v[0:1], v[2:3], v[0:1]
	v_fma_f64 v[2:3], v[166:167], s[20:21], -v[18:19]
	s_delay_alu instid0(VALU_DEP_1) | instskip(NEXT) | instid1(VALU_DEP_1)
	v_add_f64 v[2:3], v[94:95], v[2:3]
	v_add_f64 v[2:3], v[140:141], v[2:3]
	v_fma_f64 v[140:141], v[164:165], s[22:23], v[243:244]
	s_delay_alu instid0(VALU_DEP_1) | instskip(SKIP_1) | instid1(VALU_DEP_1)
	v_add_f64 v[0:1], v[140:141], v[0:1]
	v_fma_f64 v[140:141], v[176:177], s[22:23], -v[253:254]
	v_add_f64 v[2:3], v[140:141], v[2:3]
	v_fma_f64 v[140:141], v[172:173], s[14:15], v[247:248]
	s_delay_alu instid0(VALU_DEP_1) | instskip(SKIP_1) | instid1(VALU_DEP_1)
	v_add_f64 v[0:1], v[140:141], v[0:1]
	v_fma_f64 v[140:141], v[185:186], s[14:15], -v[158:159]
	v_add_f64 v[2:3], v[140:141], v[2:3]
	v_fma_f64 v[140:141], v[189:190], s[12:13], v[249:250]
	s_delay_alu instid0(VALU_DEP_1) | instskip(SKIP_1) | instid1(VALU_DEP_1)
	v_add_f64 v[140:141], v[140:141], v[0:1]
	v_mul_f64 v[0:1], v[213:214], s[16:17]
	v_fma_f64 v[142:143], v[199:200], s[12:13], -v[0:1]
	s_delay_alu instid0(VALU_DEP_1) | instskip(SKIP_1) | instid1(VALU_DEP_1)
	v_add_f64 v[142:143], v[142:143], v[2:3]
	v_fma_f64 v[2:3], v[195:196], s[26:27], v[251:252]
	v_add_f64 v[140:141], v[2:3], v[140:141]
	v_mul_f64 v[2:3], v[217:218], s[34:35]
	s_delay_alu instid0(VALU_DEP_1) | instskip(NEXT) | instid1(VALU_DEP_1)
	v_fma_f64 v[24:25], v[209:210], s[26:27], -v[2:3]
	v_add_f64 v[142:143], v[24:25], v[142:143]
	s_and_saveexec_b32 s1, s0
	s_cbranch_execz .LBB0_9
; %bb.8:
	v_mul_f64 v[23:24], v[166:167], s[30:31]
	s_clause 0x3
	scratch_store_b64 off, v[26:27], off offset:200
	scratch_store_b64 off, v[30:31], off offset:208
	;; [unrolled: 1-line block ×4, first 2 shown]
	v_mul_f64 v[21:22], v[166:167], s[26:27]
	v_mul_f64 v[30:31], v[166:167], s[22:23]
	s_mov_b32 s47, 0x3fcea1e5
	s_mov_b32 s46, s36
	v_mul_f64 v[34:35], v[162:163], s[34:35]
	scratch_store_b64 off, v[36:37], off offset:248 ; 8-byte Folded Spill
	s_mov_b32 s49, 0x3fea55e2
	s_mov_b32 s48, s16
	v_fma_f64 v[25:26], v[10:11], s[46:47], v[23:24]
	v_fma_f64 v[23:24], v[10:11], s[36:37], v[23:24]
	;; [unrolled: 1-line block ×6, first 2 shown]
	v_mul_f64 v[30:31], v[166:167], s[20:21]
	v_fma_f64 v[36:37], v[4:5], s[26:27], v[34:35]
	v_fma_f64 v[34:35], v[4:5], s[26:27], -v[34:35]
	v_add_f64 v[23:24], v[94:95], v[23:24]
	v_add_f64 v[27:28], v[94:95], v[27:28]
	;; [unrolled: 1-line block ×5, first 2 shown]
	v_mul_f64 v[30:31], v[4:5], s[20:21]
	v_add_f64 v[34:35], v[92:93], v[34:35]
	scratch_store_b64 off, v[38:39], off offset:256 ; 8-byte Folded Spill
	v_add_f64 v[36:37], v[92:93], v[36:37]
	v_add_f64 v[16:17], v[30:31], -v[16:17]
	scratch_store_b64 off, v[34:35], off offset:304 ; 8-byte Folded Spill
	v_mul_f64 v[30:31], v[166:167], s[12:13]
	s_delay_alu instid0(VALU_DEP_1) | instskip(SKIP_1) | instid1(VALU_DEP_1)
	v_add_f64 v[14:15], v[14:15], v[30:31]
	v_mul_f64 v[30:31], v[4:5], s[12:13]
	v_add_f64 v[12:13], v[30:31], -v[12:13]
	v_mul_f64 v[30:31], v[166:167], s[14:15]
	s_delay_alu instid0(VALU_DEP_1) | instskip(SKIP_2) | instid1(VALU_DEP_3)
	v_add_f64 v[8:9], v[8:9], v[30:31]
	v_mul_f64 v[30:31], v[162:163], s[36:37]
	v_mul_f64 v[162:163], v[162:163], s[28:29]
	v_add_f64 v[8:9], v[94:95], v[8:9]
	s_delay_alu instid0(VALU_DEP_3) | instskip(SKIP_1) | instid1(VALU_DEP_4)
	v_fma_f64 v[166:167], v[4:5], s[30:31], v[30:31]
	v_fma_f64 v[30:31], v[4:5], s[30:31], -v[30:31]
	v_fma_f64 v[38:39], v[4:5], s[22:23], v[162:163]
	v_fma_f64 v[162:163], v[4:5], s[22:23], -v[162:163]
	v_mul_f64 v[4:5], v[4:5], s[14:15]
	s_delay_alu instid0(VALU_DEP_4) | instskip(NEXT) | instid1(VALU_DEP_4)
	v_add_f64 v[30:31], v[92:93], v[30:31]
	v_add_f64 v[34:35], v[92:93], v[38:39]
	s_delay_alu instid0(VALU_DEP_4) | instskip(NEXT) | instid1(VALU_DEP_4)
	v_add_f64 v[162:163], v[92:93], v[162:163]
	v_add_f64 v[4:5], v[4:5], -v[6:7]
	v_add_f64 v[6:7], v[94:95], v[207:208]
	v_dual_mov_b32 v38, v201 :: v_dual_mov_b32 v39, v202
	v_dual_mov_b32 v202, v117 :: v_dual_mov_b32 v201, v116
	v_mul_f64 v[116:117], v[209:210], s[20:21]
	scratch_store_b64 off, v[34:35], off offset:296 ; 8-byte Folded Spill
	v_dual_mov_b32 v34, v132 :: v_dual_mov_b32 v35, v133
	scratch_store_b64 off, v[6:7], off offset:232 ; 8-byte Folded Spill
	v_add_f64 v[6:7], v[92:93], v[203:204]
	v_add_f64 v[4:5], v[92:93], v[4:5]
	v_dual_mov_b32 v133, v121 :: v_dual_mov_b32 v132, v120
	v_dual_mov_b32 v121, v192 :: v_dual_mov_b32 v192, v29
	v_mov_b32_e32 v29, v187
	v_mov_b32_e32 v120, v191
	;; [unrolled: 1-line block ×4, first 2 shown]
	v_mul_f64 v[187:188], v[219:220], s[28:29]
	s_clause 0x6
	scratch_store_b64 off, v[6:7], off offset:240
	scratch_store_b64 off, v[122:123], off offset:272
	scratch_store_b32 off, v174, off offset:192
	scratch_store_b32 off, v175, off offset:196
	scratch_store_b64 off, v[178:179], off offset:264
	scratch_store_b64 off, v[8:9], off offset:280
	;; [unrolled: 1-line block ×3, first 2 shown]
	v_mul_f64 v[8:9], v[160:161], s[14:15]
	v_add_f64 v[6:7], v[94:95], v[25:26]
	v_add_f64 v[174:175], v[94:95], v[18:19]
	;; [unrolled: 1-line block ×3, first 2 shown]
	v_mul_f64 v[12:13], v[176:177], s[26:27]
	v_add_f64 v[25:26], v[92:93], v[166:167]
	v_add_f64 v[166:167], v[94:95], v[10:11]
	;; [unrolled: 1-line block ×4, first 2 shown]
	v_mul_f64 v[10:11], v[168:169], s[42:43]
	v_dual_mov_b32 v122, v146 :: v_dual_mov_b32 v123, v147
	v_dual_mov_b32 v147, v129 :: v_dual_mov_b32 v146, v128
	;; [unrolled: 1-line block ×3, first 2 shown]
	v_mul_f64 v[118:119], v[219:220], s[40:41]
	v_mul_f64 v[219:220], v[219:220], s[48:49]
	v_fma_f64 v[4:5], v[170:171], s[18:19], v[8:9]
	v_fma_f64 v[8:9], v[170:171], s[42:43], v[8:9]
	;; [unrolled: 1-line block ×4, first 2 shown]
	s_delay_alu instid0(VALU_DEP_4)
	v_add_f64 v[4:5], v[4:5], v[6:7]
	v_fma_f64 v[6:7], v[102:103], s[14:15], v[10:11]
	v_add_f64 v[8:9], v[8:9], v[23:24]
	v_fma_f64 v[10:11], v[102:103], s[14:15], -v[10:11]
	v_mul_f64 v[23:24], v[160:161], s[20:21]
	v_add_f64 v[4:5], v[14:15], v[4:5]
	v_mul_f64 v[14:15], v[180:181], s[34:35]
	v_add_f64 v[6:7], v[6:7], v[25:26]
	v_add_f64 v[10:11], v[10:11], v[30:31]
	;; [unrolled: 1-line block ×3, first 2 shown]
	s_delay_alu instid0(VALU_DEP_4) | instskip(SKIP_2) | instid1(VALU_DEP_3)
	v_fma_f64 v[25:26], v[164:165], s[26:27], v[14:15]
	v_fma_f64 v[12:13], v[164:165], s[26:27], -v[14:15]
	v_fma_f64 v[14:15], v[195:196], s[20:21], -v[118:119]
	v_add_f64 v[6:7], v[25:26], v[6:7]
	v_mul_f64 v[25:26], v[185:186], s[12:13]
	s_delay_alu instid0(VALU_DEP_4) | instskip(NEXT) | instid1(VALU_DEP_2)
	v_add_f64 v[10:11], v[12:13], v[10:11]
	v_fma_f64 v[92:93], v[193:194], s[16:17], v[25:26]
	v_fma_f64 v[12:13], v[193:194], s[48:49], v[25:26]
	v_mul_f64 v[25:26], v[168:169], s[40:41]
	s_delay_alu instid0(VALU_DEP_3) | instskip(SKIP_1) | instid1(VALU_DEP_4)
	v_add_f64 v[4:5], v[92:93], v[4:5]
	v_mul_f64 v[92:93], v[205:206], s[48:49]
	v_add_f64 v[8:9], v[12:13], v[8:9]
	s_delay_alu instid0(VALU_DEP_2) | instskip(SKIP_1) | instid1(VALU_DEP_2)
	v_fma_f64 v[94:95], v[172:173], s[12:13], v[92:93]
	v_fma_f64 v[12:13], v[172:173], s[12:13], -v[92:93]
	v_add_f64 v[6:7], v[94:95], v[6:7]
	v_mul_f64 v[94:95], v[199:200], s[22:23]
	s_delay_alu instid0(VALU_DEP_3) | instskip(NEXT) | instid1(VALU_DEP_2)
	v_add_f64 v[10:11], v[12:13], v[10:11]
	v_fma_f64 v[203:204], v[213:214], s[44:45], v[94:95]
	v_fma_f64 v[12:13], v[213:214], s[28:29], v[94:95]
	v_mul_f64 v[94:95], v[160:161], s[22:23]
	s_delay_alu instid0(VALU_DEP_3) | instskip(SKIP_1) | instid1(VALU_DEP_4)
	v_add_f64 v[4:5], v[203:204], v[4:5]
	v_mul_f64 v[203:204], v[215:216], s[28:29]
	v_add_f64 v[8:9], v[12:13], v[8:9]
	s_delay_alu instid0(VALU_DEP_4) | instskip(SKIP_1) | instid1(VALU_DEP_4)
	v_add_f64 v[94:95], v[223:224], v[94:95]
	v_mul_f64 v[223:224], v[164:165], s[30:31]
	v_fma_f64 v[12:13], v[189:190], s[22:23], -v[203:204]
	v_fma_f64 v[207:208], v[189:190], s[22:23], v[203:204]
	v_mul_f64 v[203:204], v[215:216], s[42:43]
	s_delay_alu instid0(VALU_DEP_4)
	v_add_f64 v[223:224], v[223:224], -v[225:226]
	v_mul_f64 v[225:226], v[102:103], s[22:23]
	v_add_f64 v[16:17], v[94:95], v[16:17]
	v_mul_f64 v[94:95], v[189:190], s[20:21]
	v_mul_f64 v[215:216], v[215:216], s[46:47]
	v_add_f64 v[12:13], v[12:13], v[10:11]
	v_fma_f64 v[10:11], v[217:218], s[40:41], v[116:117]
	v_add_f64 v[207:208], v[207:208], v[6:7]
	v_fma_f64 v[6:7], v[217:218], s[24:25], v[116:117]
	v_mul_f64 v[116:117], v[205:206], s[46:47]
	v_mul_f64 v[205:206], v[205:206], s[24:25]
	v_add_f64 v[94:95], v[94:95], -v[229:230]
	v_add_f64 v[10:11], v[10:11], v[8:9]
	v_add_f64 v[8:9], v[14:15], v[12:13]
	v_fma_f64 v[12:13], v[170:171], s[24:25], v[23:24]
	v_fma_f64 v[14:15], v[102:103], s[20:21], v[25:26]
	v_add_f64 v[6:7], v[6:7], v[4:5]
	v_fma_f64 v[4:5], v[195:196], s[20:21], v[118:119]
	v_mul_f64 v[118:119], v[199:200], s[14:15]
	v_fma_f64 v[23:24], v[170:171], s[40:41], v[23:24]
	v_add_f64 v[12:13], v[12:13], v[27:28]
	v_mul_f64 v[27:28], v[176:177], s[12:13]
	v_add_f64 v[14:15], v[14:15], v[36:37]
	v_add_f64 v[4:5], v[4:5], v[207:208]
	v_mul_f64 v[207:208], v[209:210], s[22:23]
	v_add_f64 v[21:22], v[23:24], v[21:22]
	v_fma_f64 v[23:24], v[102:103], s[20:21], -v[25:26]
	scratch_load_b64 v[25:26], off, off offset:304 ; 8-byte Folded Reload
	v_fma_f64 v[30:31], v[182:183], s[48:49], v[27:28]
	s_delay_alu instid0(VALU_DEP_1) | instskip(SKIP_1) | instid1(VALU_DEP_1)
	v_add_f64 v[12:13], v[30:31], v[12:13]
	v_mul_f64 v[30:31], v[180:181], s[16:17]
	v_fma_f64 v[36:37], v[164:165], s[12:13], v[30:31]
	s_delay_alu instid0(VALU_DEP_1) | instskip(SKIP_1) | instid1(VALU_DEP_1)
	v_add_f64 v[14:15], v[36:37], v[14:15]
	v_mul_f64 v[36:37], v[185:186], s[30:31]
	v_fma_f64 v[92:93], v[193:194], s[36:37], v[36:37]
	s_delay_alu instid0(VALU_DEP_1) | instskip(SKIP_1) | instid1(VALU_DEP_1)
	v_add_f64 v[12:13], v[92:93], v[12:13]
	v_fma_f64 v[92:93], v[172:173], s[30:31], v[116:117]
	v_add_f64 v[14:15], v[92:93], v[14:15]
	v_fma_f64 v[92:93], v[213:214], s[18:19], v[118:119]
	s_delay_alu instid0(VALU_DEP_1)
	v_add_f64 v[12:13], v[92:93], v[12:13]
	v_fma_f64 v[92:93], v[189:190], s[14:15], v[203:204]
	s_waitcnt vmcnt(0)
	v_add_f64 v[23:24], v[23:24], v[25:26]
	v_fma_f64 v[25:26], v[182:183], s[16:17], v[27:28]
	v_fma_f64 v[27:28], v[195:196], s[22:23], -v[187:188]
	s_delay_alu instid0(VALU_DEP_4) | instskip(SKIP_1) | instid1(VALU_DEP_4)
	v_add_f64 v[92:93], v[92:93], v[14:15]
	v_fma_f64 v[14:15], v[217:218], s[44:45], v[207:208]
	v_add_f64 v[21:22], v[25:26], v[21:22]
	v_fma_f64 v[25:26], v[164:165], s[12:13], -v[30:31]
	s_delay_alu instid0(VALU_DEP_3)
	v_add_f64 v[14:15], v[14:15], v[12:13]
	v_fma_f64 v[12:13], v[195:196], s[22:23], v[187:188]
	v_dual_mov_b32 v187, v29 :: v_dual_mov_b32 v188, v255
	v_mov_b32_e32 v255, v191
	v_mov_b32_e32 v191, v120
	v_dual_mov_b32 v29, v192 :: v_dual_mov_b32 v192, v121
	v_add_f64 v[23:24], v[25:26], v[23:24]
	v_fma_f64 v[25:26], v[193:194], s[46:47], v[36:37]
	v_add_f64 v[12:13], v[12:13], v[92:93]
	v_mul_f64 v[92:93], v[176:177], s[30:31]
	s_delay_alu instid0(VALU_DEP_3) | instskip(SKIP_1) | instid1(VALU_DEP_3)
	v_add_f64 v[21:22], v[25:26], v[21:22]
	v_fma_f64 v[25:26], v[172:173], s[30:31], -v[116:117]
	v_add_f64 v[92:93], v[221:222], v[92:93]
	v_add_f64 v[221:222], v[225:226], -v[233:234]
	v_mul_f64 v[225:226], v[185:186], s[26:27]
	s_delay_alu instid0(VALU_DEP_4)
	v_add_f64 v[23:24], v[25:26], v[23:24]
	v_fma_f64 v[25:26], v[213:214], s[42:43], v[118:119]
	v_add_f64 v[16:17], v[92:93], v[16:17]
	v_add_f64 v[18:19], v[221:222], v[18:19]
	;; [unrolled: 1-line block ×3, first 2 shown]
	v_mul_f64 v[231:232], v[172:173], s[26:27]
	v_mul_f64 v[92:93], v[209:210], s[14:15]
	;; [unrolled: 1-line block ×3, first 2 shown]
	v_add_f64 v[21:22], v[25:26], v[21:22]
	v_fma_f64 v[25:26], v[189:190], s[14:15], -v[203:204]
	v_add_f64 v[18:19], v[223:224], v[18:19]
	v_add_f64 v[16:17], v[225:226], v[16:17]
	v_add_f64 v[227:228], v[231:232], -v[227:228]
	v_mul_f64 v[231:232], v[199:200], s[20:21]
	v_add_f64 v[92:93], v[245:246], v[92:93]
	v_add_f64 v[221:222], v[221:222], -v[237:238]
	v_mul_f64 v[223:224], v[102:103], s[30:31]
	v_mul_f64 v[225:226], v[185:186], s[14:15]
	v_add_f64 v[23:24], v[25:26], v[23:24]
	v_fma_f64 v[25:26], v[217:218], s[28:29], v[207:208]
	v_add_f64 v[18:19], v[227:228], v[18:19]
	v_add_f64 v[231:232], v[239:240], v[231:232]
	v_mul_f64 v[227:228], v[199:200], s[12:13]
	v_add_f64 v[223:224], v[223:224], -v[235:236]
	v_add_f64 v[158:159], v[158:159], v[225:226]
	v_mul_f64 v[225:226], v[172:173], s[14:15]
	v_add_f64 v[94:95], v[94:95], v[18:19]
	v_add_f64 v[16:17], v[231:232], v[16:17]
	;; [unrolled: 1-line block ×3, first 2 shown]
	s_delay_alu instid0(VALU_DEP_4) | instskip(NEXT) | instid1(VALU_DEP_3)
	v_add_f64 v[225:226], v[225:226], -v[247:248]
	v_add_f64 v[18:19], v[92:93], v[16:17]
	v_add_f64 v[16:17], v[221:222], v[94:95]
	v_mul_f64 v[94:95], v[160:161], s[30:31]
	v_mul_f64 v[92:93], v[176:177], s[22:23]
	;; [unrolled: 1-line block ×3, first 2 shown]
	s_delay_alu instid0(VALU_DEP_3) | instskip(NEXT) | instid1(VALU_DEP_3)
	v_add_f64 v[94:95], v[241:242], v[94:95]
	v_add_f64 v[92:93], v[253:254], v[92:93]
	s_delay_alu instid0(VALU_DEP_3) | instskip(NEXT) | instid1(VALU_DEP_3)
	v_add_f64 v[221:222], v[221:222], -v[243:244]
	v_add_f64 v[94:95], v[94:95], v[174:175]
	v_add_f64 v[174:175], v[223:224], v[178:179]
	v_mul_f64 v[178:179], v[189:190], s[12:13]
	v_mul_f64 v[223:224], v[209:210], s[12:13]
	s_delay_alu instid0(VALU_DEP_4) | instskip(NEXT) | instid1(VALU_DEP_4)
	v_add_f64 v[92:93], v[92:93], v[94:95]
	v_add_f64 v[94:95], v[221:222], v[174:175]
	s_delay_alu instid0(VALU_DEP_4)
	v_add_f64 v[178:179], v[178:179], -v[249:250]
	v_mul_f64 v[174:175], v[209:210], s[26:27]
	v_mul_f64 v[221:222], v[199:200], s[30:31]
	v_fma_f64 v[30:31], v[217:218], s[16:17], v[223:224]
	v_add_f64 v[92:93], v[158:159], v[92:93]
	v_add_f64 v[94:95], v[225:226], v[94:95]
	v_mul_f64 v[158:159], v[195:196], s[26:27]
	v_add_f64 v[2:3], v[2:3], v[174:175]
	v_mul_f64 v[174:175], v[168:169], s[38:39]
	v_add_f64 v[168:169], v[25:26], v[21:22]
	v_add_f64 v[0:1], v[0:1], v[92:93]
	;; [unrolled: 1-line block ×3, first 2 shown]
	v_add_f64 v[158:159], v[158:159], -v[251:252]
	v_mul_f64 v[178:179], v[180:181], s[42:43]
	v_fma_f64 v[94:95], v[102:103], s[26:27], -v[174:175]
	v_mul_f64 v[180:181], v[185:186], s[20:21]
	v_add_f64 v[2:3], v[2:3], v[0:1]
	v_add_f64 v[0:1], v[158:159], v[92:93]
	v_mul_f64 v[158:159], v[160:161], s[26:27]
	v_add_f64 v[94:95], v[94:95], v[162:163]
	v_mul_f64 v[162:163], v[176:177], s[14:15]
	v_fma_f64 v[25:26], v[193:194], s[40:41], v[180:181]
	s_delay_alu instid0(VALU_DEP_4) | instskip(SKIP_1) | instid1(VALU_DEP_2)
	v_fma_f64 v[92:93], v[170:171], s[38:39], v[158:159]
	v_fma_f64 v[21:22], v[170:171], s[34:35], v[158:159]
	v_add_f64 v[92:93], v[92:93], v[166:167]
	v_fma_f64 v[166:167], v[182:183], s[42:43], v[162:163]
	s_delay_alu instid0(VALU_DEP_3)
	v_add_f64 v[21:22], v[21:22], v[32:33]
	v_fma_f64 v[32:33], v[102:103], s[26:27], v[174:175]
	s_clause 0x2
	scratch_load_b32 v175, off, off offset:196
	scratch_load_b32 v174, off, off offset:192
	scratch_load_b64 v[36:37], off, off offset:296
	v_add_f64 v[92:93], v[166:167], v[92:93]
	v_fma_f64 v[166:167], v[164:165], s[14:15], -v[178:179]
	s_delay_alu instid0(VALU_DEP_1) | instskip(SKIP_1) | instid1(VALU_DEP_1)
	v_add_f64 v[94:95], v[166:167], v[94:95]
	v_fma_f64 v[166:167], v[193:194], s[24:25], v[180:181]
	v_add_f64 v[92:93], v[166:167], v[92:93]
	v_fma_f64 v[166:167], v[172:173], s[20:21], -v[205:206]
	s_delay_alu instid0(VALU_DEP_1) | instskip(SKIP_1) | instid1(VALU_DEP_1)
	v_add_f64 v[94:95], v[166:167], v[94:95]
	v_fma_f64 v[166:167], v[213:214], s[46:47], v[221:222]
	;; [unrolled: 5-line block ×3, first 2 shown]
	v_add_f64 v[94:95], v[94:95], v[92:93]
	v_fma_f64 v[92:93], v[195:196], s[12:13], -v[219:220]
	s_delay_alu instid0(VALU_DEP_1)
	v_add_f64 v[92:93], v[92:93], v[166:167]
	v_add_f64 v[166:167], v[27:28], v[23:24]
	v_fma_f64 v[23:24], v[182:183], s[18:19], v[162:163]
	v_fma_f64 v[27:28], v[213:214], s[36:37], v[221:222]
	s_waitcnt vmcnt(0)
	v_add_f64 v[32:33], v[32:33], v[36:37]
	scratch_load_b64 v[36:37], off, off offset:272 ; 8-byte Folded Reload
	v_add_f64 v[21:22], v[23:24], v[21:22]
	v_fma_f64 v[23:24], v[164:165], s[14:15], v[178:179]
	s_delay_alu instid0(VALU_DEP_2) | instskip(NEXT) | instid1(VALU_DEP_2)
	v_add_f64 v[21:22], v[25:26], v[21:22]
	v_add_f64 v[23:24], v[23:24], v[32:33]
	v_fma_f64 v[25:26], v[172:173], s[20:21], v[205:206]
	v_mul_f64 v[32:33], v[172:173], s[22:23]
	s_delay_alu instid0(VALU_DEP_4) | instskip(SKIP_1) | instid1(VALU_DEP_4)
	v_add_f64 v[21:22], v[27:28], v[21:22]
	v_mul_f64 v[27:28], v[164:165], s[20:21]
	v_add_f64 v[23:24], v[25:26], v[23:24]
	v_fma_f64 v[25:26], v[189:190], s[30:31], v[215:216]
	s_delay_alu instid0(VALU_DEP_4)
	v_add_f64 v[182:183], v[30:31], v[21:22]
	scratch_load_b64 v[30:31], off, off offset:280 ; 8-byte Folded Reload
	v_mul_f64 v[21:22], v[160:161], s[12:13]
	v_add_f64 v[23:24], v[25:26], v[23:24]
	v_fma_f64 v[25:26], v[195:196], s[12:13], v[219:220]
	v_add_f64 v[27:28], v[27:28], -v[201:202]
	s_delay_alu instid0(VALU_DEP_2)
	v_add_f64 v[180:181], v[25:26], v[23:24]
	s_clause 0x1
	scratch_load_b64 v[23:24], off, off offset:256
	scratch_load_b64 v[25:26], off, off offset:248
	s_waitcnt vmcnt(3)
	v_add_f64 v[32:33], v[32:33], -v[36:37]
	scratch_load_b64 v[36:37], off, off offset:264 ; 8-byte Folded Reload
	s_waitcnt vmcnt(2)
	v_add_f64 v[21:22], v[23:24], v[21:22]
	v_mul_f64 v[23:24], v[102:103], s[12:13]
	s_delay_alu instid0(VALU_DEP_2) | instskip(SKIP_4) | instid1(VALU_DEP_1)
	v_add_f64 v[21:22], v[21:22], v[30:31]
	scratch_load_b64 v[30:31], off, off offset:288 ; 8-byte Folded Reload
	s_waitcnt vmcnt(2)
	v_add_f64 v[23:24], v[23:24], -v[25:26]
	v_mul_f64 v[25:26], v[176:177], s[20:21]
	v_add_f64 v[25:26], v[124:125], v[25:26]
	s_delay_alu instid0(VALU_DEP_1) | instskip(SKIP_1) | instid1(VALU_DEP_1)
	v_add_f64 v[21:22], v[25:26], v[21:22]
	v_mul_f64 v[25:26], v[199:200], s[26:27]
	v_add_f64 v[25:26], v[38:39], v[25:26]
	s_waitcnt vmcnt(0)
	v_add_f64 v[23:24], v[23:24], v[30:31]
	v_mul_f64 v[30:31], v[185:186], s[22:23]
	s_delay_alu instid0(VALU_DEP_2) | instskip(NEXT) | instid1(VALU_DEP_2)
	v_add_f64 v[23:24], v[27:28], v[23:24]
	v_add_f64 v[30:31], v[126:127], v[30:31]
	v_mul_f64 v[27:28], v[189:190], s[26:27]
	s_delay_alu instid0(VALU_DEP_3) | instskip(NEXT) | instid1(VALU_DEP_3)
	v_add_f64 v[23:24], v[32:33], v[23:24]
	v_add_f64 v[21:22], v[30:31], v[21:22]
	v_mul_f64 v[30:31], v[209:210], s[30:31]
	v_mul_f64 v[32:33], v[195:196], s[30:31]
	s_delay_alu instid0(VALU_DEP_3) | instskip(NEXT) | instid1(VALU_DEP_3)
	v_add_f64 v[21:22], v[25:26], v[21:22]
	v_add_f64 v[30:31], v[211:212], v[30:31]
	s_delay_alu instid0(VALU_DEP_3) | instskip(SKIP_4) | instid1(VALU_DEP_1)
	v_add_f64 v[32:33], v[32:33], -v[197:198]
	scratch_load_b64 v[25:26], off, off offset:216 ; 8-byte Folded Reload
	v_add_f64 v[160:161], v[30:31], v[21:22]
	scratch_load_b64 v[21:22], off, off offset:232 ; 8-byte Folded Reload
	v_add_f64 v[27:28], v[27:28], -v[36:37]
	v_add_f64 v[23:24], v[27:28], v[23:24]
	s_delay_alu instid0(VALU_DEP_1) | instskip(SKIP_3) | instid1(VALU_DEP_1)
	v_add_f64 v[158:159], v[32:33], v[23:24]
	scratch_load_b64 v[23:24], off, off offset:240 ; 8-byte Folded Reload
	s_waitcnt vmcnt(1)
	v_add_f64 v[21:22], v[21:22], v[132:133]
	v_add_f64 v[21:22], v[21:22], v[130:131]
	s_delay_alu instid0(VALU_DEP_1) | instskip(NEXT) | instid1(VALU_DEP_1)
	v_add_f64 v[21:22], v[21:22], v[150:151]
	v_add_f64 v[21:22], v[21:22], v[154:155]
	s_delay_alu instid0(VALU_DEP_1) | instskip(NEXT) | instid1(VALU_DEP_1)
	;; [unrolled: 3-line block ×4, first 2 shown]
	v_add_f64 v[21:22], v[21:22], v[134:135]
	v_add_f64 v[21:22], v[21:22], v[25:26]
	scratch_load_b64 v[25:26], off, off offset:224 ; 8-byte Folded Reload
	s_waitcnt vmcnt(1)
	v_add_f64 v[23:24], v[23:24], v[128:129]
	s_delay_alu instid0(VALU_DEP_1) | instskip(NEXT) | instid1(VALU_DEP_1)
	v_add_f64 v[23:24], v[23:24], v[146:147]
	v_add_f64 v[23:24], v[23:24], v[148:149]
	s_delay_alu instid0(VALU_DEP_1) | instskip(NEXT) | instid1(VALU_DEP_1)
	v_add_f64 v[23:24], v[23:24], v[152:153]
	v_add_f64 v[23:24], v[23:24], v[110:111]
	s_delay_alu instid0(VALU_DEP_1) | instskip(NEXT) | instid1(VALU_DEP_1)
	v_add_f64 v[23:24], v[23:24], v[96:97]
	v_add_f64 v[23:24], v[23:24], v[156:157]
	s_delay_alu instid0(VALU_DEP_1) | instskip(NEXT) | instid1(VALU_DEP_1)
	v_add_f64 v[23:24], v[23:24], v[144:145]
	v_add_f64 v[23:24], v[23:24], v[34:35]
	s_waitcnt vmcnt(0)
	s_delay_alu instid0(VALU_DEP_1)
	v_add_f64 v[23:24], v[23:24], v[25:26]
	scratch_load_b64 v[25:26], off, off offset:200 ; 8-byte Folded Reload
	s_waitcnt vmcnt(0)
	v_add_f64 v[98:99], v[21:22], v[25:26]
	scratch_load_b64 v[21:22], off, off offset:208 ; 8-byte Folded Reload
	s_waitcnt vmcnt(0)
	v_add_f64 v[96:97], v[23:24], v[21:22]
	s_clause 0x1
	scratch_load_b32 v21, off, off offset:164
	scratch_load_b32 v22, off, off offset:160
	s_waitcnt vmcnt(1)
	v_mul_u32_u24_e32 v21, 0x4e, v21
	s_waitcnt vmcnt(0)
	s_delay_alu instid0(VALU_DEP_1) | instskip(NEXT) | instid1(VALU_DEP_1)
	v_add_nc_u32_e32 v21, v21, v22
	v_lshl_add_u32 v21, v21, 4, v187
	ds_store_b128 v21, v[16:19] offset:192
	ds_store_b128 v21, v[0:3] offset:288
	;; [unrolled: 1-line block ×11, first 2 shown]
	ds_store_b128 v21, v[96:99]
	ds_store_b128 v21, v[112:115] offset:1152
.LBB0_9:
	s_or_b32 exec_lo, exec_lo, s1
	v_lshlrev_b32_e32 v0, 6, v255
	s_waitcnt lgkmcnt(0)
	s_waitcnt_vscnt null, 0x0
	s_barrier
	buffer_gl0_inv
	s_mov_b32 s16, 0x134454ff
	s_clause 0x2
	global_load_b128 v[92:95], v0, s[10:11] offset:1216
	global_load_b128 v[96:99], v0, s[10:11] offset:1232
	;; [unrolled: 1-line block ×3, first 2 shown]
	ds_load_b128 v[1:4], v20 offset:2496
	ds_load_b128 v[5:8], v20 offset:3744
	;; [unrolled: 1-line block ×4, first 2 shown]
	global_load_b128 v[108:111], v0, s[10:11] offset:1264
	s_mov_b32 s17, 0x3fee6f0e
	s_mov_b32 s19, 0xbfee6f0e
	;; [unrolled: 1-line block ×9, first 2 shown]
	v_add_co_u32 v0, s1, s10, v0
	s_waitcnt vmcnt(3) lgkmcnt(3)
	v_mul_f64 v[17:18], v[3:4], v[94:95]
	v_mul_f64 v[21:22], v[1:2], v[94:95]
	s_waitcnt vmcnt(2) lgkmcnt(1)
	v_mul_f64 v[23:24], v[11:12], v[98:99]
	s_delay_alu instid0(VALU_DEP_3) | instskip(SKIP_1) | instid1(VALU_DEP_4)
	v_fma_f64 v[17:18], v[1:2], v[92:93], -v[17:18]
	v_mul_f64 v[1:2], v[9:10], v[98:99]
	v_fma_f64 v[21:22], v[3:4], v[92:93], v[21:22]
	s_delay_alu instid0(VALU_DEP_4) | instskip(NEXT) | instid1(VALU_DEP_3)
	v_fma_f64 v[23:24], v[9:10], v[96:97], -v[23:24]
	v_fma_f64 v[25:26], v[11:12], v[96:97], v[1:2]
	ds_load_b128 v[1:4], v20 offset:7488
	ds_load_b128 v[9:12], v20 offset:8736
	s_waitcnt vmcnt(1) lgkmcnt(1)
	v_mul_f64 v[27:28], v[3:4], v[102:103]
	s_delay_alu instid0(VALU_DEP_1) | instskip(SKIP_1) | instid1(VALU_DEP_2)
	v_fma_f64 v[27:28], v[1:2], v[100:101], -v[27:28]
	v_mul_f64 v[1:2], v[1:2], v[102:103]
	v_add_f64 v[126:127], v[23:24], -v[27:28]
	s_delay_alu instid0(VALU_DEP_2)
	v_fma_f64 v[30:31], v[3:4], v[100:101], v[1:2]
	ds_load_b128 v[1:4], v20 offset:9984
	ds_load_b128 v[116:119], v20 offset:11232
	s_waitcnt vmcnt(0) lgkmcnt(1)
	v_mul_f64 v[32:33], v[3:4], v[110:111]
	v_add_f64 v[122:123], v[25:26], -v[30:31]
	s_delay_alu instid0(VALU_DEP_2) | instskip(SKIP_1) | instid1(VALU_DEP_2)
	v_fma_f64 v[32:33], v[1:2], v[108:109], -v[32:33]
	v_mul_f64 v[1:2], v[1:2], v[110:111]
	v_add_f64 v[124:125], v[17:18], -v[32:33]
	s_delay_alu instid0(VALU_DEP_2) | instskip(SKIP_2) | instid1(VALU_DEP_3)
	v_fma_f64 v[34:35], v[3:4], v[108:109], v[1:2]
	v_mul_f64 v[1:2], v[15:16], v[98:99]
	v_add_f64 v[3:4], v[32:33], -v[27:28]
	v_add_f64 v[120:121], v[21:22], -v[34:35]
	s_delay_alu instid0(VALU_DEP_3) | instskip(SKIP_1) | instid1(VALU_DEP_1)
	v_fma_f64 v[36:37], v[13:14], v[96:97], -v[1:2]
	v_mul_f64 v[1:2], v[13:14], v[98:99]
	v_fma_f64 v[38:39], v[15:16], v[96:97], v[1:2]
	v_mul_f64 v[1:2], v[11:12], v[102:103]
	s_delay_alu instid0(VALU_DEP_1) | instskip(SKIP_2) | instid1(VALU_DEP_2)
	v_fma_f64 v[132:133], v[9:10], v[100:101], -v[1:2]
	v_mul_f64 v[1:2], v[9:10], v[102:103]
	v_add_f64 v[9:10], v[23:24], v[27:28]
	v_fma_f64 v[134:135], v[11:12], v[100:101], v[1:2]
	v_mul_f64 v[1:2], v[7:8], v[94:95]
	s_delay_alu instid0(VALU_DEP_1) | instskip(SKIP_1) | instid1(VALU_DEP_1)
	v_fma_f64 v[144:145], v[5:6], v[92:93], -v[1:2]
	v_mul_f64 v[1:2], v[5:6], v[94:95]
	v_fma_f64 v[146:147], v[7:8], v[92:93], v[1:2]
	s_waitcnt lgkmcnt(0)
	v_mul_f64 v[1:2], v[118:119], v[110:111]
	s_delay_alu instid0(VALU_DEP_1) | instskip(SKIP_1) | instid1(VALU_DEP_2)
	v_fma_f64 v[148:149], v[116:117], v[108:109], -v[1:2]
	v_mul_f64 v[1:2], v[116:117], v[110:111]
	v_add_f64 v[152:153], v[144:145], -v[148:149]
	s_delay_alu instid0(VALU_DEP_2) | instskip(SKIP_1) | instid1(VALU_DEP_1)
	v_fma_f64 v[150:151], v[118:119], v[108:109], v[1:2]
	v_add_f64 v[1:2], v[17:18], -v[23:24]
	v_add_f64 v[13:14], v[1:2], v[3:4]
	v_add_f64 v[1:2], v[21:22], -v[25:26]
	v_add_f64 v[3:4], v[34:35], -v[30:31]
	s_delay_alu instid0(VALU_DEP_1)
	v_add_f64 v[15:16], v[1:2], v[3:4]
	ds_load_b128 v[1:4], v20
	ds_load_b128 v[5:8], v20 offset:1248
	s_waitcnt lgkmcnt(0)
	s_barrier
	buffer_gl0_inv
	v_fma_f64 v[116:117], v[9:10], -0.5, v[1:2]
	v_add_f64 v[9:10], v[25:26], v[30:31]
	s_delay_alu instid0(VALU_DEP_1) | instskip(NEXT) | instid1(VALU_DEP_3)
	v_fma_f64 v[118:119], v[9:10], -0.5, v[3:4]
	v_fma_f64 v[9:10], v[120:121], s[16:17], v[116:117]
	v_fma_f64 v[116:117], v[120:121], s[18:19], v[116:117]
	s_delay_alu instid0(VALU_DEP_3) | instskip(SKIP_1) | instid1(VALU_DEP_4)
	v_fma_f64 v[11:12], v[124:125], s[18:19], v[118:119]
	v_fma_f64 v[118:119], v[124:125], s[16:17], v[118:119]
	;; [unrolled: 1-line block ×3, first 2 shown]
	s_delay_alu instid0(VALU_DEP_4) | instskip(NEXT) | instid1(VALU_DEP_4)
	v_fma_f64 v[116:117], v[122:123], s[14:15], v[116:117]
	v_fma_f64 v[11:12], v[126:127], s[14:15], v[11:12]
	s_delay_alu instid0(VALU_DEP_4) | instskip(NEXT) | instid1(VALU_DEP_4)
	v_fma_f64 v[118:119], v[126:127], s[12:13], v[118:119]
	v_fma_f64 v[9:10], v[13:14], s[20:21], v[9:10]
	s_delay_alu instid0(VALU_DEP_4) | instskip(SKIP_4) | instid1(VALU_DEP_4)
	v_fma_f64 v[13:14], v[13:14], s[20:21], v[116:117]
	v_add_f64 v[116:117], v[17:18], v[32:33]
	v_fma_f64 v[11:12], v[15:16], s[20:21], v[11:12]
	v_fma_f64 v[15:16], v[15:16], s[20:21], v[118:119]
	v_add_f64 v[118:119], v[21:22], v[34:35]
	v_fma_f64 v[116:117], v[116:117], -0.5, v[1:2]
	v_add_f64 v[1:2], v[1:2], v[17:18]
	v_add_f64 v[17:18], v[23:24], -v[17:18]
	s_delay_alu instid0(VALU_DEP_4) | instskip(SKIP_4) | instid1(VALU_DEP_4)
	v_fma_f64 v[118:119], v[118:119], -0.5, v[3:4]
	v_add_f64 v[3:4], v[3:4], v[21:22]
	v_add_f64 v[21:22], v[25:26], -v[21:22]
	v_add_f64 v[1:2], v[1:2], v[23:24]
	v_add_f64 v[23:24], v[27:28], -v[32:33]
	;; [unrolled: 2-line block ×3, first 2 shown]
	s_delay_alu instid0(VALU_DEP_4)
	v_add_f64 v[1:2], v[1:2], v[27:28]
	v_fma_f64 v[27:28], v[122:123], s[18:19], v[116:117]
	v_add_f64 v[17:18], v[17:18], v[23:24]
	v_add_f64 v[3:4], v[3:4], v[30:31]
	v_fma_f64 v[30:31], v[122:123], s[16:17], v[116:117]
	v_add_f64 v[1:2], v[1:2], v[32:33]
	v_fma_f64 v[32:33], v[126:127], s[16:17], v[118:119]
	;; [unrolled: 2-line block ×4, first 2 shown]
	v_fma_f64 v[25:26], v[120:121], s[14:15], v[30:31]
	v_fma_f64 v[27:28], v[124:125], s[14:15], v[32:33]
	;; [unrolled: 1-line block ×3, first 2 shown]
	v_add_f64 v[23:24], v[134:135], -v[150:151]
	v_fma_f64 v[30:31], v[124:125], s[12:13], v[34:35]
	v_fma_f64 v[120:121], v[17:18], s[20:21], v[25:26]
	;; [unrolled: 1-line block ×3, first 2 shown]
	v_add_f64 v[17:18], v[36:37], -v[144:145]
	v_add_f64 v[25:26], v[146:147], v[150:151]
	v_add_f64 v[27:28], v[38:39], -v[134:135]
	v_add_f64 v[34:35], v[36:37], -v[132:133]
	v_fma_f64 v[122:123], v[21:22], s[20:21], v[30:31]
	v_add_f64 v[21:22], v[132:133], -v[148:149]
	v_add_f64 v[30:31], v[146:147], -v[150:151]
	v_fma_f64 v[25:26], v[25:26], -0.5, v[7:8]
	s_delay_alu instid0(VALU_DEP_3) | instskip(SKIP_1) | instid1(VALU_DEP_3)
	v_add_f64 v[17:18], v[17:18], v[21:22]
	v_add_f64 v[21:22], v[38:39], -v[146:147]
	v_fma_f64 v[124:125], v[34:35], s[16:17], v[25:26]
	v_fma_f64 v[25:26], v[34:35], s[18:19], v[25:26]
	s_delay_alu instid0(VALU_DEP_3) | instskip(SKIP_1) | instid1(VALU_DEP_4)
	v_add_f64 v[21:22], v[21:22], v[23:24]
	v_add_f64 v[23:24], v[144:145], v[148:149]
	v_fma_f64 v[126:127], v[152:153], s[14:15], v[124:125]
	s_delay_alu instid0(VALU_DEP_4) | instskip(NEXT) | instid1(VALU_DEP_3)
	v_fma_f64 v[25:26], v[152:153], s[12:13], v[25:26]
	v_fma_f64 v[23:24], v[23:24], -0.5, v[5:6]
	s_delay_alu instid0(VALU_DEP_3) | instskip(NEXT) | instid1(VALU_DEP_3)
	v_fma_f64 v[126:127], v[21:22], s[20:21], v[126:127]
	v_fma_f64 v[130:131], v[21:22], s[20:21], v[25:26]
	v_add_f64 v[21:22], v[38:39], v[134:135]
	v_add_f64 v[25:26], v[146:147], -v[38:39]
	v_fma_f64 v[32:33], v[27:28], s[18:19], v[23:24]
	v_fma_f64 v[23:24], v[27:28], s[16:17], v[23:24]
	s_delay_alu instid0(VALU_DEP_4) | instskip(SKIP_1) | instid1(VALU_DEP_4)
	v_fma_f64 v[21:22], v[21:22], -0.5, v[7:8]
	v_add_f64 v[7:8], v[7:8], v[146:147]
	v_fma_f64 v[32:33], v[30:31], s[12:13], v[32:33]
	s_delay_alu instid0(VALU_DEP_4) | instskip(NEXT) | instid1(VALU_DEP_3)
	v_fma_f64 v[23:24], v[30:31], s[14:15], v[23:24]
	v_add_f64 v[7:8], v[7:8], v[38:39]
	s_delay_alu instid0(VALU_DEP_3) | instskip(NEXT) | instid1(VALU_DEP_3)
	v_fma_f64 v[124:125], v[17:18], s[20:21], v[32:33]
	v_fma_f64 v[128:129], v[17:18], s[20:21], v[23:24]
	v_add_f64 v[17:18], v[36:37], v[132:133]
	v_add_f64 v[23:24], v[144:145], -v[36:37]
	v_add_f64 v[32:33], v[148:149], -v[132:133]
	v_add_f64 v[7:8], v[7:8], v[134:135]
	s_delay_alu instid0(VALU_DEP_4) | instskip(SKIP_1) | instid1(VALU_DEP_4)
	v_fma_f64 v[17:18], v[17:18], -0.5, v[5:6]
	v_add_f64 v[5:6], v[5:6], v[144:145]
	v_add_f64 v[23:24], v[23:24], v[32:33]
	s_delay_alu instid0(VALU_DEP_4) | instskip(NEXT) | instid1(VALU_DEP_4)
	v_add_f64 v[7:8], v[7:8], v[150:151]
	v_fma_f64 v[38:39], v[30:31], s[16:17], v[17:18]
	s_delay_alu instid0(VALU_DEP_4)
	v_add_f64 v[5:6], v[5:6], v[36:37]
	v_add_f64 v[36:37], v[150:151], -v[134:135]
	v_fma_f64 v[17:18], v[30:31], s[18:19], v[17:18]
	v_fma_f64 v[30:31], v[152:153], s[18:19], v[21:22]
	;; [unrolled: 1-line block ×4, first 2 shown]
	v_add_f64 v[5:6], v[5:6], v[132:133]
	v_add_f64 v[25:26], v[25:26], v[36:37]
	v_fma_f64 v[17:18], v[27:28], s[14:15], v[17:18]
	v_fma_f64 v[27:28], v[34:35], s[14:15], v[30:31]
	;; [unrolled: 1-line block ×4, first 2 shown]
	v_add_f64 v[5:6], v[5:6], v[148:149]
	ds_store_b128 v20, v[1:4]
	ds_store_b128 v20, v[9:12] offset:1248
	ds_store_b128 v20, v[116:119] offset:2496
	;; [unrolled: 1-line block ×5, first 2 shown]
	v_fma_f64 v[134:135], v[25:26], s[20:21], v[27:28]
	v_fma_f64 v[144:145], v[23:24], s[20:21], v[17:18]
	;; [unrolled: 1-line block ×3, first 2 shown]
	v_mul_i32_i24_e32 v2, 0xffffffd0, v255
	v_mul_hi_i32_i24_e32 v1, 0xffffffd0, v255
	v_add_co_ci_u32_e64 v3, null, s11, 0, s1
	s_delay_alu instid0(VALU_DEP_3) | instskip(NEXT) | instid1(VALU_DEP_1)
	v_add_co_u32 v21, s1, v0, v2
	v_add_co_ci_u32_e64 v22, s1, v3, v1, s1
	s_delay_alu instid0(VALU_DEP_2) | instskip(NEXT) | instid1(VALU_DEP_1)
	v_add_co_u32 v0, s1, 0x1000, v21
	v_add_co_ci_u32_e64 v1, s1, 0, v22, s1
	v_add_co_u32 v21, s1, 0x2000, v21
	s_delay_alu instid0(VALU_DEP_1)
	v_add_co_ci_u32_e64 v22, s1, 0, v22, s1
	ds_store_b128 v20, v[132:135] offset:7488
	ds_store_b128 v20, v[124:127] offset:8736
	;; [unrolled: 1-line block ×4, first 2 shown]
	s_waitcnt lgkmcnt(0)
	s_barrier
	buffer_gl0_inv
	s_clause 0x1
	global_load_b128 v[116:119], v[0:1], off offset:2112
	global_load_b128 v[120:123], v[0:1], off offset:3360
	ds_load_b128 v[0:3], v20 offset:6240
	ds_load_b128 v[4:7], v20 offset:4992
	s_waitcnt vmcnt(1) lgkmcnt(1)
	v_mul_f64 v[8:9], v[2:3], v[118:119]
	s_delay_alu instid0(VALU_DEP_1) | instskip(SKIP_1) | instid1(VALU_DEP_1)
	v_fma_f64 v[12:13], v[0:1], v[116:117], -v[8:9]
	v_mul_f64 v[0:1], v[0:1], v[118:119]
	v_fma_f64 v[14:15], v[2:3], v[116:117], v[0:1]
	ds_load_b128 v[0:3], v20 offset:7488
	ds_load_b128 v[8:11], v20 offset:8736
	s_clause 0x1
	global_load_b128 v[128:131], v[21:22], off offset:512
	global_load_b128 v[124:127], v[21:22], off offset:1760
	s_waitcnt vmcnt(2) lgkmcnt(1)
	v_mul_f64 v[16:17], v[2:3], v[122:123]
	s_delay_alu instid0(VALU_DEP_1) | instskip(SKIP_1) | instid1(VALU_DEP_1)
	v_fma_f64 v[16:17], v[0:1], v[120:121], -v[16:17]
	v_mul_f64 v[0:1], v[0:1], v[122:123]
	v_fma_f64 v[18:19], v[2:3], v[120:121], v[0:1]
	s_waitcnt vmcnt(1) lgkmcnt(0)
	v_mul_f64 v[0:1], v[10:11], v[130:131]
	s_delay_alu instid0(VALU_DEP_1) | instskip(SKIP_1) | instid1(VALU_DEP_1)
	v_fma_f64 v[23:24], v[8:9], v[128:129], -v[0:1]
	v_mul_f64 v[0:1], v[8:9], v[130:131]
	v_fma_f64 v[25:26], v[10:11], v[128:129], v[0:1]
	ds_load_b128 v[0:3], v20 offset:9984
	ds_load_b128 v[8:11], v20 offset:11232
	global_load_b128 v[132:135], v[21:22], off offset:3008
	s_waitcnt vmcnt(1) lgkmcnt(1)
	v_mul_f64 v[27:28], v[2:3], v[126:127]
	s_delay_alu instid0(VALU_DEP_1) | instskip(SKIP_1) | instid1(VALU_DEP_1)
	v_fma_f64 v[27:28], v[0:1], v[124:125], -v[27:28]
	v_mul_f64 v[0:1], v[0:1], v[126:127]
	v_fma_f64 v[30:31], v[2:3], v[124:125], v[0:1]
	s_waitcnt vmcnt(0) lgkmcnt(0)
	v_mul_f64 v[0:1], v[10:11], v[134:135]
	s_delay_alu instid0(VALU_DEP_1) | instskip(SKIP_1) | instid1(VALU_DEP_2)
	v_fma_f64 v[21:22], v[8:9], v[132:133], -v[0:1]
	v_mul_f64 v[0:1], v[8:9], v[134:135]
	v_add_f64 v[160:161], v[4:5], -v[21:22]
	s_delay_alu instid0(VALU_DEP_2)
	v_fma_f64 v[32:33], v[10:11], v[132:133], v[0:1]
	ds_load_b128 v[0:3], v20
	ds_load_b128 v[8:11], v20 offset:1248
	ds_load_b128 v[144:147], v20 offset:2496
	;; [unrolled: 1-line block ×3, first 2 shown]
	s_waitcnt lgkmcnt(3)
	v_add_f64 v[12:13], v[0:1], -v[12:13]
	v_add_f64 v[14:15], v[2:3], -v[14:15]
	s_waitcnt lgkmcnt(2)
	v_add_f64 v[16:17], v[8:9], -v[16:17]
	v_add_f64 v[18:19], v[10:11], -v[18:19]
	;; [unrolled: 3-line block ×4, first 2 shown]
	v_fma_f64 v[4:5], v[4:5], 2.0, -v[160:161]
	v_add_f64 v[162:163], v[6:7], -v[32:33]
	v_fma_f64 v[0:1], v[0:1], 2.0, -v[12:13]
	v_fma_f64 v[2:3], v[2:3], 2.0, -v[14:15]
	;; [unrolled: 1-line block ×8, first 2 shown]
	ds_store_b128 v20, v[0:3]
	ds_store_b128 v20, v[8:11] offset:1248
	v_fma_f64 v[6:7], v[6:7], 2.0, -v[162:163]
	v_lshlrev_b32_e32 v1, 4, v255
	v_lshl_add_u32 v0, v175, 4, v174
	ds_store_b128 v20, v[16:19] offset:7488
	ds_store_b128 v0, v[152:155] offset:8736
	;; [unrolled: 1-line block ×8, first 2 shown]
	v_add_co_u32 v19, s1, s8, v1
	s_delay_alu instid0(VALU_DEP_1) | instskip(SKIP_1) | instid1(VALU_DEP_2)
	v_add_co_ci_u32_e64 v25, null, s9, 0, s1
	s_waitcnt lgkmcnt(0)
	v_add_co_u32 v1, s1, 0x3000, v19
	s_delay_alu instid0(VALU_DEP_1)
	v_add_co_ci_u32_e64 v2, s1, 0, v25, s1
	s_barrier
	buffer_gl0_inv
	v_add_co_u32 v17, s1, 0x30c0, v19
	global_load_b128 v[1:4], v[1:2], off offset:192
	ds_load_b128 v[5:8], v20
	ds_load_b128 v[9:12], v20 offset:1248
	v_add_co_ci_u32_e64 v18, s1, 0, v25, s1
	ds_load_b128 v[148:151], v20 offset:6240
	ds_load_b128 v[156:159], v20 offset:4992
	global_load_b128 v[13:16], v[17:18], off offset:3744
	s_waitcnt vmcnt(1) lgkmcnt(3)
	v_mul_f64 v[21:22], v[7:8], v[3:4]
	v_mul_f64 v[23:24], v[5:6], v[3:4]
	s_delay_alu instid0(VALU_DEP_2) | instskip(NEXT) | instid1(VALU_DEP_2)
	v_fma_f64 v[3:4], v[5:6], v[1:2], -v[21:22]
	v_fma_f64 v[5:6], v[7:8], v[1:2], v[23:24]
	v_add_co_u32 v1, s1, 0x4000, v19
	s_delay_alu instid0(VALU_DEP_1)
	v_add_co_ci_u32_e64 v2, s1, 0, v25, s1
	s_clause 0x3
	global_load_b128 v[144:147], v[1:2], off offset:2336
	global_load_b128 v[152:155], v[1:2], off offset:1088
	;; [unrolled: 1-line block ×4, first 2 shown]
	s_waitcnt vmcnt(3) lgkmcnt(1)
	v_mul_f64 v[7:8], v[150:151], v[146:147]
	v_mul_f64 v[21:22], v[148:149], v[146:147]
	s_waitcnt vmcnt(1)
	v_mul_f64 v[17:18], v[9:10], v[162:163]
	s_delay_alu instid0(VALU_DEP_3) | instskip(SKIP_1) | instid1(VALU_DEP_4)
	v_fma_f64 v[146:147], v[148:149], v[144:145], -v[7:8]
	v_mul_f64 v[7:8], v[11:12], v[162:163]
	v_fma_f64 v[148:149], v[150:151], v[144:145], v[21:22]
	v_add_co_u32 v21, s1, 0x5000, v19
	s_delay_alu instid0(VALU_DEP_1) | instskip(NEXT) | instid1(VALU_DEP_4)
	v_add_co_ci_u32_e64 v22, s1, 0, v25, s1
	v_fma_f64 v[7:8], v[9:10], v[160:161], -v[7:8]
	v_fma_f64 v[9:10], v[11:12], v[160:161], v[17:18]
	s_clause 0x1
	global_load_b128 v[160:163], v[1:2], off offset:3584
	global_load_b128 v[168:171], v[21:22], off offset:736
	ds_load_b128 v[172:175], v20 offset:7488
	ds_load_b128 v[176:179], v20 offset:8736
	s_waitcnt vmcnt(1) lgkmcnt(1)
	v_mul_f64 v[1:2], v[174:175], v[162:163]
	v_mul_f64 v[11:12], v[172:173], v[162:163]
	s_delay_alu instid0(VALU_DEP_2) | instskip(NEXT) | instid1(VALU_DEP_2)
	v_fma_f64 v[172:173], v[172:173], v[160:161], -v[1:2]
	v_fma_f64 v[174:175], v[174:175], v[160:161], v[11:12]
	ds_load_b128 v[160:163], v20 offset:2496
	ds_load_b128 v[180:183], v20 offset:3744
	s_waitcnt lgkmcnt(1)
	v_mul_f64 v[1:2], v[162:163], v[166:167]
	v_mul_f64 v[11:12], v[160:161], v[166:167]
	s_delay_alu instid0(VALU_DEP_2) | instskip(SKIP_2) | instid1(VALU_DEP_3)
	v_fma_f64 v[160:161], v[160:161], v[164:165], -v[1:2]
	s_waitcnt vmcnt(0)
	v_mul_f64 v[1:2], v[178:179], v[170:171]
	v_fma_f64 v[162:163], v[162:163], v[164:165], v[11:12]
	v_mul_f64 v[11:12], v[176:177], v[170:171]
	s_delay_alu instid0(VALU_DEP_3) | instskip(SKIP_3) | instid1(VALU_DEP_4)
	v_fma_f64 v[164:165], v[176:177], v[168:169], -v[1:2]
	s_waitcnt lgkmcnt(0)
	v_mul_f64 v[1:2], v[182:183], v[15:16]
	v_mul_f64 v[15:16], v[180:181], v[15:16]
	v_fma_f64 v[166:167], v[178:179], v[168:169], v[11:12]
	s_delay_alu instid0(VALU_DEP_3) | instskip(NEXT) | instid1(VALU_DEP_3)
	v_fma_f64 v[11:12], v[180:181], v[13:14], -v[1:2]
	v_fma_f64 v[13:14], v[182:183], v[13:14], v[15:16]
	s_clause 0x1
	global_load_b128 v[15:18], v[21:22], off offset:1984
	global_load_b128 v[168:171], v[21:22], off offset:3232
	ds_load_b128 v[176:179], v20 offset:9984
	ds_load_b128 v[180:183], v20 offset:11232
	s_waitcnt vmcnt(1) lgkmcnt(1)
	v_mul_f64 v[1:2], v[178:179], v[17:18]
	v_mul_f64 v[17:18], v[176:177], v[17:18]
	s_waitcnt vmcnt(0) lgkmcnt(0)
	v_mul_f64 v[21:22], v[180:181], v[170:171]
	s_delay_alu instid0(VALU_DEP_3) | instskip(SKIP_1) | instid1(VALU_DEP_4)
	v_fma_f64 v[176:177], v[176:177], v[15:16], -v[1:2]
	v_mul_f64 v[1:2], v[158:159], v[154:155]
	v_fma_f64 v[178:179], v[178:179], v[15:16], v[17:18]
	v_mul_f64 v[17:18], v[156:157], v[154:155]
	s_delay_alu instid0(VALU_DEP_3) | instskip(SKIP_1) | instid1(VALU_DEP_3)
	v_fma_f64 v[15:16], v[156:157], v[152:153], -v[1:2]
	v_mul_f64 v[1:2], v[182:183], v[170:171]
	v_fma_f64 v[17:18], v[158:159], v[152:153], v[17:18]
	v_fma_f64 v[152:153], v[182:183], v[168:169], v[21:22]
	s_delay_alu instid0(VALU_DEP_3)
	v_fma_f64 v[150:151], v[180:181], v[168:169], -v[1:2]
	ds_store_b128 v20, v[3:6]
	ds_store_b128 v20, v[7:10] offset:1248
	ds_store_b128 v20, v[172:175] offset:7488
	;; [unrolled: 1-line block ×9, first 2 shown]
	s_waitcnt lgkmcnt(0)
	s_barrier
	buffer_gl0_inv
	ds_load_b128 v[1:4], v20 offset:6240
	ds_load_b128 v[5:8], v20
	ds_load_b128 v[9:12], v20 offset:1248
	ds_load_b128 v[13:16], v20 offset:4992
	;; [unrolled: 1-line block ×8, first 2 shown]
	s_waitcnt lgkmcnt(0)
	s_barrier
	buffer_gl0_inv
	scratch_load_b32 v17, off, off offset:168 ; 4-byte Folded Reload
	v_add_f64 v[1:2], v[5:6], -v[1:2]
	v_add_f64 v[3:4], v[7:8], -v[3:4]
	s_delay_alu instid0(VALU_DEP_2) | instskip(NEXT) | instid1(VALU_DEP_2)
	v_fma_f64 v[5:6], v[5:6], 2.0, -v[1:2]
	v_fma_f64 v[7:8], v[7:8], 2.0, -v[3:4]
	s_waitcnt vmcnt(0)
	ds_store_b128 v17, v[1:4] offset:16
	ds_store_b128 v17, v[5:8]
	v_add_f64 v[1:2], v[9:10], -v[144:145]
	v_add_f64 v[3:4], v[11:12], -v[146:147]
	;; [unrolled: 1-line block ×4, first 2 shown]
	s_delay_alu instid0(VALU_DEP_4) | instskip(NEXT) | instid1(VALU_DEP_4)
	v_fma_f64 v[5:6], v[9:10], 2.0, -v[1:2]
	v_fma_f64 v[7:8], v[11:12], 2.0, -v[3:4]
	ds_store_b128 v192, v[1:4] offset:16
	ds_store_b128 v192, v[5:8]
	v_add_f64 v[1:2], v[152:153], -v[148:149]
	v_add_f64 v[3:4], v[154:155], -v[150:151]
	s_delay_alu instid0(VALU_DEP_2) | instskip(NEXT) | instid1(VALU_DEP_2)
	v_fma_f64 v[5:6], v[152:153], 2.0, -v[1:2]
	v_fma_f64 v[7:8], v[154:155], 2.0, -v[3:4]
	ds_store_b128 v29, v[1:4] offset:16
	ds_store_b128 v29, v[5:8]
	v_add_f64 v[1:2], v[156:157], -v[160:161]
	v_add_f64 v[3:4], v[158:159], -v[162:163]
	s_delay_alu instid0(VALU_DEP_2) | instskip(NEXT) | instid1(VALU_DEP_2)
	v_fma_f64 v[5:6], v[156:157], 2.0, -v[1:2]
	v_fma_f64 v[7:8], v[158:159], 2.0, -v[3:4]
	ds_store_b128 v191, v[1:4] offset:16
	ds_store_b128 v191, v[5:8]
	scratch_load_b32 v5, off, off offset:188 ; 4-byte Folded Reload
	v_fma_f64 v[1:2], v[13:14], 2.0, -v[144:145]
	v_fma_f64 v[3:4], v[15:16], 2.0, -v[146:147]
	s_waitcnt vmcnt(0)
	ds_store_b128 v5, v[1:4]
	ds_store_b128 v5, v[144:147] offset:16
	s_waitcnt lgkmcnt(0)
	s_barrier
	buffer_gl0_inv
	ds_load_b128 v[152:155], v20
	ds_load_b128 v[148:151], v20 offset:1248
	ds_load_b128 v[172:175], v20 offset:8320
	;; [unrolled: 1-line block ×8, first 2 shown]
	s_and_saveexec_b32 s1, vcc_lo
	s_cbranch_execz .LBB0_11
; %bb.10:
	ds_load_b128 v[144:147], v20 offset:3744
	ds_load_b128 v[140:143], v20 offset:7904
	;; [unrolled: 1-line block ×3, first 2 shown]
.LBB0_11:
	s_or_b32 exec_lo, exec_lo, s1
	s_waitcnt lgkmcnt(4)
	v_mul_f64 v[1:2], v[50:51], v[182:183]
	v_mul_f64 v[3:4], v[46:47], v[174:175]
	;; [unrolled: 1-line block ×4, first 2 shown]
	s_waitcnt lgkmcnt(2)
	v_mul_f64 v[9:10], v[50:51], v[178:179]
	v_mul_f64 v[11:12], v[46:47], v[162:163]
	s_waitcnt lgkmcnt(1)
	v_mul_f64 v[17:18], v[50:51], v[166:167]
	s_waitcnt lgkmcnt(0)
	v_mul_f64 v[21:22], v[46:47], v[170:171]
	v_mul_f64 v[23:24], v[50:51], v[164:165]
	;; [unrolled: 1-line block ×9, first 2 shown]
	s_mov_b32 s8, 0xe8584caa
	s_mov_b32 s9, 0xbfebb67a
	;; [unrolled: 1-line block ×4, first 2 shown]
	s_barrier
	buffer_gl0_inv
	v_fma_f64 v[1:2], v[48:49], v[180:181], v[1:2]
	v_fma_f64 v[3:4], v[44:45], v[172:173], v[3:4]
	v_fma_f64 v[5:6], v[48:49], v[182:183], -v[5:6]
	v_fma_f64 v[7:8], v[44:45], v[174:175], -v[7:8]
	v_fma_f64 v[9:10], v[48:49], v[176:177], v[9:10]
	v_fma_f64 v[11:12], v[44:45], v[160:161], v[11:12]
	v_fma_f64 v[17:18], v[48:49], v[164:165], v[17:18]
	v_fma_f64 v[21:22], v[44:45], v[168:169], v[21:22]
	v_fma_f64 v[23:24], v[48:49], v[166:167], -v[23:24]
	v_fma_f64 v[25:26], v[44:45], v[170:171], -v[25:26]
	;; [unrolled: 1-line block ×4, first 2 shown]
	v_fma_f64 v[27:28], v[48:49], v[140:141], v[27:28]
	v_fma_f64 v[29:30], v[44:45], v[136:137], v[29:30]
	v_fma_f64 v[31:32], v[48:49], v[142:143], -v[31:32]
	v_fma_f64 v[33:34], v[44:45], v[138:139], -v[33:34]
	v_add_f64 v[140:141], v[152:153], v[1:2]
	v_add_f64 v[35:36], v[1:2], v[3:4]
	v_add_f64 v[1:2], v[1:2], -v[3:4]
	v_add_f64 v[37:38], v[5:6], v[7:8]
	v_add_f64 v[142:143], v[5:6], -v[7:8]
	v_add_f64 v[44:45], v[9:10], v[11:12]
	v_add_f64 v[160:161], v[148:149], v[9:10]
	;; [unrolled: 1-line block ×7, first 2 shown]
	v_add_f64 v[13:14], v[13:14], -v[15:16]
	v_add_f64 v[136:137], v[27:28], v[29:30]
	v_add_f64 v[9:10], v[9:10], -v[11:12]
	v_add_f64 v[138:139], v[31:32], v[33:34]
	v_add_f64 v[168:169], v[144:145], v[27:28]
	;; [unrolled: 1-line block ×5, first 2 shown]
	v_add_f64 v[23:24], v[23:24], -v[25:26]
	v_add_f64 v[17:18], v[17:18], -v[21:22]
	;; [unrolled: 1-line block ×4, first 2 shown]
	v_fma_f64 v[35:36], v[35:36], -0.5, v[152:153]
	v_fma_f64 v[37:38], v[37:38], -0.5, v[154:155]
	;; [unrolled: 1-line block ×3, first 2 shown]
	v_add_f64 v[44:45], v[140:141], v[3:4]
	v_fma_f64 v[172:173], v[48:49], -0.5, v[156:157]
	v_fma_f64 v[174:175], v[50:51], -0.5, v[158:159]
	;; [unrolled: 1-line block ×3, first 2 shown]
	v_add_f64 v[46:47], v[5:6], v[7:8]
	v_fma_f64 v[176:177], v[136:137], -0.5, v[144:145]
	v_add_f64 v[136:137], v[160:161], v[11:12]
	v_fma_f64 v[178:179], v[138:139], -0.5, v[146:147]
	v_add_f64 v[138:139], v[162:163], v[15:16]
	v_add_f64 v[156:157], v[168:169], v[29:30]
	;; [unrolled: 1-line block ×5, first 2 shown]
	v_fma_f64 v[140:141], v[142:143], s[8:9], v[35:36]
	v_fma_f64 v[48:49], v[142:143], s[10:11], v[35:36]
	v_fma_f64 v[142:143], v[1:2], s[10:11], v[37:38]
	v_fma_f64 v[50:51], v[1:2], s[8:9], v[37:38]
	scratch_load_b32 v1, off, off offset:184 ; 4-byte Folded Reload
	v_fma_f64 v[144:145], v[13:14], s[8:9], v[148:149]
	v_fma_f64 v[148:149], v[13:14], s[10:11], v[148:149]
	v_fma_f64 v[168:169], v[23:24], s[8:9], v[172:173]
	v_fma_f64 v[160:161], v[23:24], s[10:11], v[172:173]
	v_fma_f64 v[170:171], v[17:18], s[10:11], v[174:175]
	v_fma_f64 v[146:147], v[9:10], s[10:11], v[150:151]
	v_fma_f64 v[150:151], v[9:10], s[8:9], v[150:151]
	v_fma_f64 v[162:163], v[17:18], s[8:9], v[174:175]
	v_fma_f64 v[164:165], v[31:32], s[8:9], v[176:177]
	v_fma_f64 v[172:173], v[31:32], s[10:11], v[176:177]
	v_fma_f64 v[166:167], v[27:28], s[10:11], v[178:179]
	v_fma_f64 v[174:175], v[27:28], s[8:9], v[178:179]
	s_waitcnt vmcnt(0)
	ds_store_b128 v1, v[44:47]
	ds_store_b128 v1, v[140:143] offset:32
	ds_store_b128 v1, v[48:51] offset:64
	scratch_load_b32 v1, off, off offset:180 ; 4-byte Folded Reload
	s_waitcnt vmcnt(0)
	ds_store_b128 v1, v[136:139]
	ds_store_b128 v1, v[144:147] offset:32
	ds_store_b128 v1, v[148:151] offset:64
	scratch_load_b32 v1, off, off offset:176 ; 4-byte Folded Reload
	s_waitcnt vmcnt(0)
	ds_store_b128 v1, v[152:155]
	ds_store_b128 v1, v[168:171] offset:32
	ds_store_b128 v1, v[160:163] offset:64
	s_and_saveexec_b32 s1, vcc_lo
	s_cbranch_execz .LBB0_13
; %bb.12:
	scratch_load_b32 v1, off, off offset:172 ; 4-byte Folded Reload
	s_waitcnt vmcnt(0)
	v_mul_u32_u24_e32 v1, 6, v1
	s_delay_alu instid0(VALU_DEP_1) | instskip(NEXT) | instid1(VALU_DEP_1)
	v_or_b32_e32 v1, v1, v188
	v_lshl_add_u32 v1, v1, 4, v187
	ds_store_b128 v1, v[156:159]
	ds_store_b128 v1, v[164:167] offset:32
	ds_store_b128 v1, v[172:175] offset:64
.LBB0_13:
	s_or_b32 exec_lo, exec_lo, s1
	s_waitcnt lgkmcnt(0)
	s_barrier
	buffer_gl0_inv
	s_and_saveexec_b32 s1, s0
	s_cbranch_execz .LBB0_15
; %bb.14:
	ds_load_b128 v[44:47], v20
	ds_load_b128 v[140:143], v20 offset:960
	ds_load_b128 v[48:51], v20 offset:1920
	;; [unrolled: 1-line block ×12, first 2 shown]
.LBB0_15:
	s_or_b32 exec_lo, exec_lo, s1
	v_add_nc_u32_e32 v14, 0x9c0, v0
	v_add_nc_u32_e32 v13, 0xea0, v0
	;; [unrolled: 1-line block ×3, first 2 shown]
	s_waitcnt lgkmcnt(0)
	s_barrier
	buffer_gl0_inv
	s_and_saveexec_b32 s33, s0
	s_cbranch_execz .LBB0_17
; %bb.16:
	v_mul_f64 v[0:1], v[90:91], v[154:155]
	v_mul_f64 v[2:3], v[42:43], v[140:141]
	;; [unrolled: 1-line block ×3, first 2 shown]
	s_mov_b32 s35, 0x3fddbe06
	s_mov_b32 s34, 0x4267c47c
	;; [unrolled: 1-line block ×28, first 2 shown]
	v_mov_b32_e32 v241, v187
	s_mov_b32 s37, 0x3fe5384d
	s_mov_b32 s36, s16
	scratch_load_b32 v19, off, off offset:164 ; 4-byte Folded Reload
	v_fma_f64 v[176:177], v[88:89], v[152:153], v[0:1]
	v_mul_f64 v[0:1], v[90:91], v[152:153]
	v_fma_f64 v[2:3], v[40:41], v[142:143], -v[2:3]
	s_delay_alu instid0(VALU_DEP_2) | instskip(SKIP_1) | instid1(VALU_DEP_1)
	v_fma_f64 v[90:91], v[88:89], v[154:155], -v[0:1]
	v_mul_f64 v[0:1], v[106:107], v[170:171]
	v_fma_f64 v[88:89], v[104:105], v[168:169], v[0:1]
	v_mul_f64 v[0:1], v[106:107], v[168:169]
	s_delay_alu instid0(VALU_DEP_2) | instskip(NEXT) | instid1(VALU_DEP_2)
	v_add_f64 v[6:7], v[176:177], -v[88:89]
	v_fma_f64 v[104:105], v[104:105], v[170:171], -v[0:1]
	v_mul_f64 v[0:1], v[82:83], v[150:151]
	v_add_f64 v[213:214], v[176:177], v[88:89]
	s_delay_alu instid0(VALU_DEP_4) | instskip(NEXT) | instid1(VALU_DEP_4)
	v_mul_f64 v[10:11], v[6:7], s[34:35]
	v_add_f64 v[209:210], v[90:91], v[104:105]
	s_delay_alu instid0(VALU_DEP_4) | instskip(SKIP_3) | instid1(VALU_DEP_3)
	v_fma_f64 v[106:107], v[80:81], v[148:149], v[0:1]
	v_mul_f64 v[0:1], v[82:83], v[148:149]
	v_mul_f64 v[211:212], v[6:7], s[24:25]
	;; [unrolled: 1-line block ×3, first 2 shown]
	v_fma_f64 v[80:81], v[80:81], v[150:151], -v[0:1]
	v_mul_f64 v[0:1], v[42:43], v[142:143]
	s_delay_alu instid0(VALU_DEP_1) | instskip(SKIP_2) | instid1(VALU_DEP_3)
	v_fma_f64 v[0:1], v[40:41], v[140:141], v[0:1]
	v_fma_f64 v[40:41], v[84:85], v[160:161], v[4:5]
	v_mul_f64 v[4:5], v[86:87], v[160:161]
	v_add_f64 v[185:186], v[44:45], v[0:1]
	s_delay_alu instid0(VALU_DEP_2) | instskip(SKIP_1) | instid1(VALU_DEP_1)
	v_fma_f64 v[42:43], v[84:85], v[162:163], -v[4:5]
	v_mul_f64 v[4:5], v[74:75], v[146:147]
	v_fma_f64 v[82:83], v[72:73], v[144:145], v[4:5]
	v_mul_f64 v[4:5], v[74:75], v[144:145]
	s_delay_alu instid0(VALU_DEP_1) | instskip(SKIP_1) | instid1(VALU_DEP_1)
	v_fma_f64 v[84:85], v[72:73], v[146:147], -v[4:5]
	v_mul_f64 v[4:5], v[78:79], v[158:159]
	v_fma_f64 v[72:73], v[76:77], v[156:157], v[4:5]
	v_mul_f64 v[4:5], v[78:79], v[156:157]
	s_delay_alu instid0(VALU_DEP_2) | instskip(NEXT) | instid1(VALU_DEP_2)
	v_add_f64 v[197:198], v[82:83], v[72:73]
	v_fma_f64 v[74:75], v[76:77], v[158:159], -v[4:5]
	v_mul_f64 v[4:5], v[66:67], v[138:139]
	s_delay_alu instid0(VALU_DEP_2) | instskip(NEXT) | instid1(VALU_DEP_2)
	v_add_f64 v[195:196], v[84:85], v[74:75]
	v_fma_f64 v[76:77], v[64:65], v[136:137], v[4:5]
	v_mul_f64 v[4:5], v[66:67], v[136:137]
	s_delay_alu instid0(VALU_DEP_1) | instskip(SKIP_1) | instid1(VALU_DEP_1)
	v_fma_f64 v[78:79], v[64:65], v[138:139], -v[4:5]
	v_mul_f64 v[4:5], v[70:71], v[166:167]
	v_fma_f64 v[64:65], v[68:69], v[164:165], v[4:5]
	v_mul_f64 v[4:5], v[70:71], v[164:165]
	v_add_f64 v[70:71], v[82:83], -v[72:73]
	s_delay_alu instid0(VALU_DEP_3) | instskip(NEXT) | instid1(VALU_DEP_3)
	v_add_f64 v[193:194], v[76:77], v[64:65]
	v_fma_f64 v[66:67], v[68:69], v[166:167], -v[4:5]
	v_mul_f64 v[4:5], v[58:59], v[50:51]
	s_delay_alu instid0(VALU_DEP_4) | instskip(SKIP_1) | instid1(VALU_DEP_4)
	v_mul_f64 v[138:139], v[70:71], s[34:35]
	v_mul_f64 v[221:222], v[70:71], s[36:37]
	v_add_f64 v[86:87], v[78:79], -v[66:67]
	s_delay_alu instid0(VALU_DEP_4) | instskip(SKIP_2) | instid1(VALU_DEP_4)
	v_fma_f64 v[68:69], v[56:57], v[48:49], v[4:5]
	v_mul_f64 v[4:5], v[58:59], v[48:49]
	v_add_f64 v[191:192], v[78:79], v[66:67]
	v_mul_f64 v[144:145], v[86:87], s[34:35]
	v_mul_f64 v[219:220], v[86:87], s[18:19]
	s_delay_alu instid0(VALU_DEP_4) | instskip(SKIP_1) | instid1(VALU_DEP_1)
	v_fma_f64 v[58:59], v[56:57], v[50:51], -v[4:5]
	v_mul_f64 v[4:5], v[62:63], v[174:175]
	v_fma_f64 v[48:49], v[60:61], v[172:173], v[4:5]
	v_mul_f64 v[4:5], v[62:63], v[172:173]
	v_add_f64 v[62:63], v[84:85], -v[74:75]
	s_delay_alu instid0(VALU_DEP_3) | instskip(NEXT) | instid1(VALU_DEP_3)
	v_add_f64 v[8:9], v[68:69], -v[48:49]
	v_fma_f64 v[56:57], v[60:61], v[174:175], -v[4:5]
	v_mul_f64 v[4:5], v[54:55], v[114:115]
	v_add_f64 v[60:61], v[90:91], -v[104:105]
	v_mul_f64 v[140:141], v[62:63], s[34:35]
	v_add_f64 v[189:190], v[68:69], v[48:49]
	v_mul_f64 v[223:224], v[62:63], s[36:37]
	v_mul_f64 v[15:16], v[8:9], s[34:35]
	v_add_f64 v[187:188], v[58:59], v[56:57]
	v_fma_f64 v[50:51], v[52:53], v[112:113], v[4:5]
	v_mul_f64 v[4:5], v[54:55], v[112:113]
	v_add_f64 v[54:55], v[106:107], -v[40:41]
	v_add_f64 v[112:113], v[76:77], -v[64:65]
	v_mul_f64 v[136:137], v[60:61], s[34:35]
	v_mul_f64 v[215:216], v[60:61], s[24:25]
	v_add_f64 v[25:26], v[0:1], -v[50:51]
	v_fma_f64 v[52:53], v[52:53], v[114:115], -v[4:5]
	v_add_f64 v[114:115], v[58:59], -v[56:57]
	v_add_f64 v[4:5], v[80:81], -v[42:43]
	v_mul_f64 v[21:22], v[54:55], s[34:35]
	v_mul_f64 v[142:143], v[112:113], s[34:35]
	v_add_f64 v[168:169], v[0:1], v[50:51]
	v_mul_f64 v[201:202], v[54:55], s[20:21]
	v_mul_f64 v[217:218], v[112:113], s[18:19]
	;; [unrolled: 1-line block ×8, first 2 shown]
	s_mov_b32 s35, 0xbfddbe06
	v_mul_f64 v[31:32], v[25:26], s[20:21]
	v_mul_f64 v[33:34], v[25:26], s[28:29]
	v_mul_f64 v[35:36], v[25:26], s[30:31]
	v_mul_f64 v[25:26], v[25:26], s[34:35]
	v_add_f64 v[37:38], v[2:3], v[52:53]
	v_mul_f64 v[205:206], v[4:5], s[20:21]
	v_mul_f64 v[227:228], v[4:5], s[24:25]
	;; [unrolled: 1-line block ×4, first 2 shown]
	v_fma_f64 v[146:147], v[37:38], s[14:15], v[27:28]
	v_fma_f64 v[27:28], v[37:38], s[14:15], -v[27:28]
	v_fma_f64 v[148:149], v[37:38], s[8:9], v[29:30]
	v_fma_f64 v[29:30], v[37:38], s[8:9], -v[29:30]
	;; [unrolled: 2-line block ×6, first 2 shown]
	v_add_f64 v[37:38], v[2:3], -v[52:53]
	v_add_f64 v[0:1], v[46:47], v[146:147]
	v_add_f64 v[27:28], v[46:47], v[27:28]
	v_add_f64 v[148:149], v[46:47], v[148:149]
	v_add_f64 v[29:30], v[46:47], v[29:30]
	v_add_f64 v[150:151], v[46:47], v[150:151]
	v_add_f64 v[31:32], v[46:47], v[31:32]
	v_add_f64 v[33:34], v[46:47], v[33:34]
	v_add_f64 v[35:36], v[46:47], v[35:36]
	v_add_f64 v[25:26], v[46:47], v[25:26]
	v_mul_f64 v[158:159], v[37:38], s[18:19]
	v_mul_f64 v[160:161], v[37:38], s[16:17]
	;; [unrolled: 1-line block ×6, first 2 shown]
	s_mov_b32 s35, 0x3fcea1e5
	s_mov_b32 s34, s18
	v_fma_f64 v[170:171], v[168:169], s[14:15], -v[158:159]
	v_fma_f64 v[158:159], v[168:169], s[14:15], v[158:159]
	v_fma_f64 v[172:173], v[168:169], s[8:9], -v[160:161]
	v_fma_f64 v[160:161], v[168:169], s[8:9], v[160:161]
	;; [unrolled: 2-line block ×5, first 2 shown]
	v_fma_f64 v[182:183], v[168:169], s[22:23], v[37:38]
	v_fma_f64 v[37:38], v[168:169], s[22:23], -v[37:38]
	v_add_f64 v[168:169], v[46:47], v[2:3]
	v_add_f64 v[2:3], v[44:45], v[170:171]
	;; [unrolled: 1-line block ×14, first 2 shown]
	v_fma_f64 v[44:45], v[187:188], s[22:23], v[15:16]
	v_add_f64 v[172:173], v[46:47], v[152:153]
	v_add_f64 v[166:167], v[46:47], v[156:157]
	v_fma_f64 v[15:16], v[187:188], s[22:23], -v[15:16]
	s_delay_alu instid0(VALU_DEP_4) | instskip(SKIP_2) | instid1(VALU_DEP_4)
	v_add_f64 v[0:1], v[44:45], v[0:1]
	v_fma_f64 v[44:45], v[189:190], s[22:23], -v[17:18]
	v_fma_f64 v[17:18], v[189:190], s[22:23], v[17:18]
	v_add_f64 v[15:16], v[15:16], v[27:28]
	s_delay_alu instid0(VALU_DEP_3) | instskip(SKIP_1) | instid1(VALU_DEP_4)
	v_add_f64 v[2:3], v[44:45], v[2:3]
	v_mul_f64 v[44:45], v[112:113], s[16:17]
	v_add_f64 v[17:18], v[17:18], v[146:147]
	v_mul_f64 v[146:147], v[114:115], s[24:25]
	s_delay_alu instid0(VALU_DEP_3) | instskip(SKIP_2) | instid1(VALU_DEP_3)
	v_fma_f64 v[46:47], v[191:192], s[8:9], v[44:45]
	v_fma_f64 v[27:28], v[191:192], s[8:9], -v[44:45]
	v_fma_f64 v[44:45], v[213:214], s[10:11], v[215:216]
	v_add_f64 v[0:1], v[46:47], v[0:1]
	v_mul_f64 v[46:47], v[86:87], s[16:17]
	s_delay_alu instid0(VALU_DEP_4) | instskip(NEXT) | instid1(VALU_DEP_2)
	v_add_f64 v[15:16], v[27:28], v[15:16]
	v_fma_f64 v[152:153], v[193:194], s[8:9], -v[46:47]
	v_fma_f64 v[27:28], v[193:194], s[8:9], v[46:47]
	v_fma_f64 v[46:47], v[189:190], s[10:11], -v[146:147]
	s_delay_alu instid0(VALU_DEP_3) | instskip(SKIP_1) | instid1(VALU_DEP_4)
	v_add_f64 v[2:3], v[152:153], v[2:3]
	v_mul_f64 v[152:153], v[70:71], s[26:27]
	v_add_f64 v[17:18], v[27:28], v[17:18]
	s_delay_alu instid0(VALU_DEP_4) | instskip(NEXT) | instid1(VALU_DEP_3)
	v_add_f64 v[46:47], v[46:47], v[158:159]
	v_fma_f64 v[156:157], v[195:196], s[12:13], v[152:153]
	v_fma_f64 v[27:28], v[195:196], s[12:13], -v[152:153]
	s_delay_alu instid0(VALU_DEP_2) | instskip(SKIP_1) | instid1(VALU_DEP_3)
	v_add_f64 v[0:1], v[156:157], v[0:1]
	v_mul_f64 v[156:157], v[62:63], s[26:27]
	v_add_f64 v[15:16], v[27:28], v[15:16]
	s_delay_alu instid0(VALU_DEP_2) | instskip(SKIP_1) | instid1(VALU_DEP_2)
	v_fma_f64 v[199:200], v[197:198], s[12:13], -v[156:157]
	v_fma_f64 v[27:28], v[197:198], s[12:13], v[156:157]
	v_add_f64 v[2:3], v[199:200], v[2:3]
	v_add_f64 v[199:200], v[80:81], v[42:43]
	s_delay_alu instid0(VALU_DEP_3) | instskip(NEXT) | instid1(VALU_DEP_2)
	v_add_f64 v[17:18], v[27:28], v[17:18]
	v_fma_f64 v[203:204], v[199:200], s[0:1], v[201:202]
	v_fma_f64 v[27:28], v[199:200], s[0:1], -v[201:202]
	s_delay_alu instid0(VALU_DEP_2) | instskip(SKIP_1) | instid1(VALU_DEP_3)
	v_add_f64 v[0:1], v[203:204], v[0:1]
	v_add_f64 v[203:204], v[106:107], v[40:41]
	;; [unrolled: 1-line block ×3, first 2 shown]
	s_delay_alu instid0(VALU_DEP_2) | instskip(SKIP_2) | instid1(VALU_DEP_3)
	v_fma_f64 v[27:28], v[203:204], s[0:1], v[205:206]
	v_fma_f64 v[207:208], v[203:204], s[0:1], -v[205:206]
	v_mul_f64 v[205:206], v[6:7], s[20:21]
	v_add_f64 v[27:28], v[27:28], v[17:18]
	v_fma_f64 v[17:18], v[209:210], s[10:11], -v[211:212]
	s_delay_alu instid0(VALU_DEP_4) | instskip(SKIP_2) | instid1(VALU_DEP_4)
	v_add_f64 v[207:208], v[207:208], v[2:3]
	v_fma_f64 v[2:3], v[209:210], s[10:11], v[211:212]
	v_mul_f64 v[211:212], v[6:7], s[26:27]
	v_add_f64 v[17:18], v[17:18], v[15:16]
	v_add_f64 v[15:16], v[44:45], v[27:28]
	v_mul_f64 v[27:28], v[8:9], s[24:25]
	v_add_f64 v[2:3], v[2:3], v[0:1]
	v_fma_f64 v[0:1], v[213:214], s[10:11], -v[215:216]
	v_mul_f64 v[215:216], v[114:115], s[20:21]
	s_mov_b32 s25, 0x3fedeba7
	s_mov_b32 s24, s20
	s_delay_alu instid0(SALU_CYCLE_1) | instskip(SKIP_4) | instid1(VALU_DEP_4)
	v_mul_f64 v[231:232], v[86:87], s[24:25]
	v_fma_f64 v[44:45], v[187:188], s[10:11], v[27:28]
	v_fma_f64 v[27:28], v[187:188], s[10:11], -v[27:28]
	v_add_f64 v[0:1], v[0:1], v[207:208]
	v_mul_f64 v[207:208], v[60:61], s[20:21]
	v_add_f64 v[44:45], v[44:45], v[148:149]
	v_mul_f64 v[148:149], v[112:113], s[30:31]
	v_add_f64 v[27:28], v[27:28], v[29:30]
	v_fma_f64 v[29:30], v[189:190], s[10:11], v[146:147]
	s_delay_alu instid0(VALU_DEP_3) | instskip(SKIP_1) | instid1(VALU_DEP_3)
	v_fma_f64 v[152:153], v[191:192], s[12:13], v[148:149]
	v_fma_f64 v[146:147], v[191:192], s[12:13], -v[148:149]
	v_add_f64 v[29:30], v[29:30], v[160:161]
	s_delay_alu instid0(VALU_DEP_3) | instskip(SKIP_1) | instid1(VALU_DEP_4)
	v_add_f64 v[44:45], v[152:153], v[44:45]
	v_mul_f64 v[152:153], v[86:87], s[30:31]
	v_add_f64 v[27:28], v[146:147], v[27:28]
	s_delay_alu instid0(VALU_DEP_2) | instskip(SKIP_1) | instid1(VALU_DEP_2)
	v_fma_f64 v[156:157], v[193:194], s[12:13], -v[152:153]
	v_fma_f64 v[146:147], v[193:194], s[12:13], v[152:153]
	v_add_f64 v[46:47], v[156:157], v[46:47]
	v_mul_f64 v[156:157], v[70:71], s[34:35]
	s_delay_alu instid0(VALU_DEP_3) | instskip(NEXT) | instid1(VALU_DEP_2)
	v_add_f64 v[29:30], v[146:147], v[29:30]
	v_fma_f64 v[158:159], v[195:196], s[14:15], v[156:157]
	v_fma_f64 v[146:147], v[195:196], s[14:15], -v[156:157]
	s_delay_alu instid0(VALU_DEP_2) | instskip(SKIP_1) | instid1(VALU_DEP_3)
	v_add_f64 v[44:45], v[158:159], v[44:45]
	v_mul_f64 v[158:159], v[62:63], s[34:35]
	v_add_f64 v[27:28], v[146:147], v[27:28]
	s_delay_alu instid0(VALU_DEP_2) | instskip(SKIP_1) | instid1(VALU_DEP_2)
	v_fma_f64 v[201:202], v[197:198], s[14:15], -v[158:159]
	v_fma_f64 v[146:147], v[197:198], s[14:15], v[158:159]
	v_add_f64 v[46:47], v[201:202], v[46:47]
	v_fma_f64 v[201:202], v[199:200], s[22:23], v[21:22]
	v_fma_f64 v[21:22], v[199:200], s[22:23], -v[21:22]
	s_delay_alu instid0(VALU_DEP_4) | instskip(NEXT) | instid1(VALU_DEP_3)
	v_add_f64 v[29:30], v[146:147], v[29:30]
	v_add_f64 v[44:45], v[201:202], v[44:45]
	v_fma_f64 v[201:202], v[203:204], s[22:23], -v[23:24]
	s_delay_alu instid0(VALU_DEP_4) | instskip(SKIP_2) | instid1(VALU_DEP_4)
	v_add_f64 v[21:22], v[21:22], v[27:28]
	v_fma_f64 v[23:24], v[203:204], s[22:23], v[23:24]
	v_fma_f64 v[27:28], v[209:210], s[0:1], -v[205:206]
	v_add_f64 v[201:202], v[201:202], v[46:47]
	v_fma_f64 v[46:47], v[209:210], s[0:1], v[205:206]
	s_delay_alu instid0(VALU_DEP_4)
	v_add_f64 v[23:24], v[23:24], v[29:30]
	v_fma_f64 v[29:30], v[213:214], s[0:1], v[207:208]
	v_add_f64 v[148:149], v[27:28], v[21:22]
	v_mul_f64 v[21:22], v[8:9], s[36:37]
	v_mul_f64 v[27:28], v[114:115], s[36:37]
	;; [unrolled: 1-line block ×3, first 2 shown]
	v_add_f64 v[46:47], v[46:47], v[44:45]
	v_fma_f64 v[44:45], v[213:214], s[0:1], -v[207:208]
	v_add_f64 v[146:147], v[29:30], v[23:24]
	v_mul_f64 v[207:208], v[4:5], s[34:35]
	v_fma_f64 v[23:24], v[187:188], s[8:9], v[21:22]
	v_fma_f64 v[29:30], v[189:190], s[8:9], -v[27:28]
	v_fma_f64 v[21:22], v[187:188], s[8:9], -v[21:22]
	v_fma_f64 v[27:28], v[189:190], s[8:9], v[27:28]
	v_add_f64 v[44:45], v[44:45], v[201:202]
	v_mul_f64 v[201:202], v[62:63], s[28:29]
	v_add_f64 v[23:24], v[23:24], v[150:151]
	v_fma_f64 v[150:151], v[191:192], s[22:23], v[142:143]
	v_add_f64 v[29:30], v[29:30], v[170:171]
	v_mul_f64 v[170:171], v[70:71], s[28:29]
	v_add_f64 v[21:22], v[21:22], v[31:32]
	v_fma_f64 v[31:32], v[191:192], s[22:23], -v[142:143]
	v_add_f64 v[27:28], v[27:28], v[162:163]
	v_add_f64 v[23:24], v[150:151], v[23:24]
	v_fma_f64 v[150:151], v[193:194], s[22:23], -v[144:145]
	s_delay_alu instid0(VALU_DEP_4) | instskip(SKIP_1) | instid1(VALU_DEP_3)
	v_add_f64 v[21:22], v[31:32], v[21:22]
	v_fma_f64 v[31:32], v[193:194], s[22:23], v[144:145]
	v_add_f64 v[29:30], v[150:151], v[29:30]
	v_fma_f64 v[150:151], v[195:196], s[10:11], v[170:171]
	s_delay_alu instid0(VALU_DEP_3) | instskip(SKIP_1) | instid1(VALU_DEP_3)
	v_add_f64 v[27:28], v[31:32], v[27:28]
	v_fma_f64 v[31:32], v[195:196], s[10:11], -v[170:171]
	v_add_f64 v[23:24], v[150:151], v[23:24]
	v_fma_f64 v[150:151], v[197:198], s[10:11], -v[201:202]
	s_delay_alu instid0(VALU_DEP_3) | instskip(SKIP_1) | instid1(VALU_DEP_3)
	v_add_f64 v[21:22], v[31:32], v[21:22]
	v_fma_f64 v[31:32], v[197:198], s[10:11], v[201:202]
	v_add_f64 v[29:30], v[150:151], v[29:30]
	v_fma_f64 v[150:151], v[199:200], s[14:15], v[205:206]
	s_delay_alu instid0(VALU_DEP_3) | instskip(SKIP_1) | instid1(VALU_DEP_3)
	v_add_f64 v[27:28], v[31:32], v[27:28]
	v_fma_f64 v[31:32], v[199:200], s[14:15], -v[205:206]
	v_add_f64 v[23:24], v[150:151], v[23:24]
	v_fma_f64 v[150:151], v[203:204], s[14:15], -v[207:208]
	s_delay_alu instid0(VALU_DEP_3) | instskip(SKIP_1) | instid1(VALU_DEP_3)
	v_add_f64 v[21:22], v[31:32], v[21:22]
	v_fma_f64 v[31:32], v[203:204], s[14:15], v[207:208]
	v_add_f64 v[29:30], v[150:151], v[29:30]
	v_fma_f64 v[150:151], v[209:210], s[12:13], v[211:212]
	s_delay_alu instid0(VALU_DEP_3) | instskip(SKIP_1) | instid1(VALU_DEP_3)
	v_add_f64 v[27:28], v[31:32], v[27:28]
	v_fma_f64 v[31:32], v[209:210], s[12:13], -v[211:212]
	v_add_f64 v[152:153], v[150:151], v[23:24]
	v_mul_f64 v[23:24], v[60:61], s[26:27]
	s_delay_alu instid0(VALU_DEP_3) | instskip(NEXT) | instid1(VALU_DEP_2)
	v_add_f64 v[144:145], v[31:32], v[21:22]
	v_fma_f64 v[150:151], v[213:214], s[12:13], -v[23:24]
	v_fma_f64 v[23:24], v[213:214], s[12:13], v[23:24]
	s_delay_alu instid0(VALU_DEP_2) | instskip(SKIP_1) | instid1(VALU_DEP_3)
	v_add_f64 v[150:151], v[150:151], v[29:30]
	v_mul_f64 v[29:30], v[8:9], s[20:21]
	v_add_f64 v[142:143], v[23:24], v[27:28]
	v_fma_f64 v[23:24], v[189:190], s[14:15], -v[229:230]
	s_delay_alu instid0(VALU_DEP_3) | instskip(NEXT) | instid1(VALU_DEP_2)
	v_fma_f64 v[156:157], v[187:188], s[0:1], -v[29:30]
	v_add_f64 v[23:24], v[23:24], v[174:175]
	s_delay_alu instid0(VALU_DEP_2) | instskip(SKIP_1) | instid1(VALU_DEP_1)
	v_add_f64 v[35:36], v[156:157], v[35:36]
	v_fma_f64 v[156:157], v[189:190], s[0:1], v[215:216]
	v_add_f64 v[154:155], v[156:157], v[154:155]
	v_fma_f64 v[156:157], v[191:192], s[14:15], -v[217:218]
	s_delay_alu instid0(VALU_DEP_1) | instskip(SKIP_1) | instid1(VALU_DEP_1)
	v_add_f64 v[35:36], v[156:157], v[35:36]
	v_fma_f64 v[156:157], v[193:194], s[14:15], v[219:220]
	v_add_f64 v[154:155], v[156:157], v[154:155]
	v_fma_f64 v[156:157], v[195:196], s[8:9], -v[221:222]
	s_delay_alu instid0(VALU_DEP_1) | instskip(SKIP_1) | instid1(VALU_DEP_1)
	;; [unrolled: 5-line block ×3, first 2 shown]
	v_add_f64 v[35:36], v[156:157], v[35:36]
	v_fma_f64 v[156:157], v[203:204], s[10:11], v[227:228]
	v_add_f64 v[154:155], v[156:157], v[154:155]
	v_fma_f64 v[156:157], v[209:210], s[22:23], -v[10:11]
	v_fma_f64 v[10:11], v[209:210], s[22:23], v[10:11]
	s_delay_alu instid0(VALU_DEP_2) | instskip(SKIP_1) | instid1(VALU_DEP_1)
	v_add_f64 v[156:157], v[156:157], v[35:36]
	v_fma_f64 v[35:36], v[213:214], s[22:23], v[136:137]
	v_add_f64 v[154:155], v[35:36], v[154:155]
	v_mul_f64 v[35:36], v[8:9], s[18:19]
	s_delay_alu instid0(VALU_DEP_1) | instskip(SKIP_1) | instid1(VALU_DEP_2)
	v_fma_f64 v[158:159], v[187:188], s[14:15], -v[35:36]
	v_fma_f64 v[21:22], v[187:188], s[14:15], v[35:36]
	v_add_f64 v[33:34], v[158:159], v[33:34]
	v_fma_f64 v[158:159], v[189:190], s[14:15], v[229:230]
	s_delay_alu instid0(VALU_DEP_3) | instskip(NEXT) | instid1(VALU_DEP_2)
	v_add_f64 v[21:22], v[21:22], v[172:173]
	v_add_f64 v[158:159], v[158:159], v[164:165]
	v_mul_f64 v[164:165], v[112:113], s[24:25]
	s_delay_alu instid0(VALU_DEP_1) | instskip(SKIP_1) | instid1(VALU_DEP_2)
	v_fma_f64 v[160:161], v[191:192], s[0:1], -v[164:165]
	v_fma_f64 v[27:28], v[191:192], s[0:1], v[164:165]
	v_add_f64 v[33:34], v[160:161], v[33:34]
	v_fma_f64 v[160:161], v[193:194], s[0:1], v[231:232]
	s_delay_alu instid0(VALU_DEP_3) | instskip(SKIP_1) | instid1(VALU_DEP_3)
	v_add_f64 v[21:22], v[27:28], v[21:22]
	v_fma_f64 v[27:28], v[193:194], s[0:1], -v[231:232]
	v_add_f64 v[158:159], v[160:161], v[158:159]
	v_fma_f64 v[160:161], v[195:196], s[22:23], -v[138:139]
	s_delay_alu instid0(VALU_DEP_3) | instskip(SKIP_1) | instid1(VALU_DEP_3)
	v_add_f64 v[23:24], v[27:28], v[23:24]
	v_fma_f64 v[27:28], v[195:196], s[22:23], v[138:139]
	v_add_f64 v[33:34], v[160:161], v[33:34]
	v_fma_f64 v[160:161], v[197:198], s[22:23], v[140:141]
	s_delay_alu instid0(VALU_DEP_3) | instskip(SKIP_1) | instid1(VALU_DEP_3)
	v_add_f64 v[21:22], v[27:28], v[21:22]
	v_fma_f64 v[27:28], v[197:198], s[22:23], -v[140:141]
	v_add_f64 v[158:159], v[160:161], v[158:159]
	v_fma_f64 v[160:161], v[199:200], s[12:13], -v[233:234]
	s_delay_alu instid0(VALU_DEP_3) | instskip(SKIP_1) | instid1(VALU_DEP_3)
	v_add_f64 v[23:24], v[27:28], v[23:24]
	;; [unrolled: 10-line block ×3, first 2 shown]
	v_fma_f64 v[27:28], v[209:210], s[8:9], v[237:238]
	v_add_f64 v[160:161], v[160:161], v[33:34]
	v_mul_f64 v[33:34], v[60:61], s[16:17]
	s_delay_alu instid0(VALU_DEP_3)
	v_add_f64 v[140:141], v[27:28], v[21:22]
	v_fma_f64 v[21:22], v[187:188], s[0:1], v[29:30]
	v_fma_f64 v[27:28], v[191:192], s[14:15], v[217:218]
	v_mul_f64 v[60:61], v[60:61], s[18:19]
	v_fma_f64 v[31:32], v[213:214], s[8:9], -v[33:34]
	v_fma_f64 v[239:240], v[213:214], s[8:9], v[33:34]
	v_add_f64 v[21:22], v[21:22], v[178:179]
	s_delay_alu instid0(VALU_DEP_3) | instskip(SKIP_1) | instid1(VALU_DEP_3)
	v_add_f64 v[138:139], v[31:32], v[23:24]
	v_fma_f64 v[23:24], v[189:190], s[0:1], -v[215:216]
	v_add_f64 v[21:22], v[27:28], v[21:22]
	v_fma_f64 v[27:28], v[193:194], s[14:15], -v[219:220]
	v_add_f64 v[158:159], v[239:240], v[158:159]
	s_delay_alu instid0(VALU_DEP_4) | instskip(NEXT) | instid1(VALU_DEP_1)
	v_add_f64 v[23:24], v[23:24], v[180:181]
	v_add_f64 v[23:24], v[27:28], v[23:24]
	v_fma_f64 v[27:28], v[195:196], s[8:9], v[221:222]
	s_delay_alu instid0(VALU_DEP_1) | instskip(SKIP_1) | instid1(VALU_DEP_1)
	v_add_f64 v[21:22], v[27:28], v[21:22]
	v_fma_f64 v[27:28], v[197:198], s[8:9], -v[223:224]
	v_add_f64 v[23:24], v[27:28], v[23:24]
	v_fma_f64 v[27:28], v[199:200], s[10:11], v[225:226]
	s_delay_alu instid0(VALU_DEP_1) | instskip(SKIP_1) | instid1(VALU_DEP_2)
	v_add_f64 v[21:22], v[27:28], v[21:22]
	v_fma_f64 v[27:28], v[203:204], s[10:11], -v[227:228]
	v_add_f64 v[164:165], v[10:11], v[21:22]
	v_mul_f64 v[21:22], v[8:9], s[30:31]
	s_delay_alu instid0(VALU_DEP_3) | instskip(SKIP_1) | instid1(VALU_DEP_3)
	v_add_f64 v[23:24], v[27:28], v[23:24]
	v_fma_f64 v[27:28], v[213:214], s[22:23], -v[136:137]
	v_fma_f64 v[8:9], v[187:188], s[12:13], -v[21:22]
	v_fma_f64 v[21:22], v[187:188], s[12:13], v[21:22]
	s_delay_alu instid0(VALU_DEP_3) | instskip(SKIP_1) | instid1(VALU_DEP_4)
	v_add_f64 v[162:163], v[27:28], v[23:24]
	v_mul_f64 v[23:24], v[114:115], s[30:31]
	v_add_f64 v[8:9], v[8:9], v[25:26]
	v_mul_f64 v[25:26], v[112:113], s[28:29]
	v_add_f64 v[21:22], v[21:22], v[166:167]
	s_delay_alu instid0(VALU_DEP_4) | instskip(SKIP_1) | instid1(VALU_DEP_4)
	v_fma_f64 v[10:11], v[189:190], s[12:13], v[23:24]
	v_fma_f64 v[23:24], v[189:190], s[12:13], -v[23:24]
	v_fma_f64 v[27:28], v[191:192], s[10:11], -v[25:26]
	v_fma_f64 v[25:26], v[191:192], s[10:11], v[25:26]
	s_delay_alu instid0(VALU_DEP_4) | instskip(NEXT) | instid1(VALU_DEP_4)
	v_add_f64 v[10:11], v[10:11], v[182:183]
	v_add_f64 v[23:24], v[23:24], v[37:38]
	s_delay_alu instid0(VALU_DEP_4) | instskip(SKIP_2) | instid1(VALU_DEP_2)
	v_add_f64 v[8:9], v[27:28], v[8:9]
	v_mul_f64 v[27:28], v[86:87], s[28:29]
	v_add_f64 v[21:22], v[25:26], v[21:22]
	v_fma_f64 v[29:30], v[193:194], s[10:11], v[27:28]
	v_fma_f64 v[27:28], v[193:194], s[10:11], -v[27:28]
	s_delay_alu instid0(VALU_DEP_2) | instskip(SKIP_1) | instid1(VALU_DEP_3)
	v_add_f64 v[10:11], v[29:30], v[10:11]
	v_mul_f64 v[29:30], v[70:71], s[20:21]
	v_add_f64 v[23:24], v[27:28], v[23:24]
	s_delay_alu instid0(VALU_DEP_2) | instskip(SKIP_1) | instid1(VALU_DEP_2)
	v_fma_f64 v[31:32], v[195:196], s[0:1], -v[29:30]
	v_fma_f64 v[29:30], v[195:196], s[0:1], v[29:30]
	v_add_f64 v[8:9], v[31:32], v[8:9]
	v_mul_f64 v[31:32], v[62:63], s[20:21]
	s_delay_alu instid0(VALU_DEP_3) | instskip(NEXT) | instid1(VALU_DEP_2)
	v_add_f64 v[21:22], v[29:30], v[21:22]
	v_fma_f64 v[33:34], v[197:198], s[0:1], v[31:32]
	v_fma_f64 v[31:32], v[197:198], s[0:1], -v[31:32]
	s_delay_alu instid0(VALU_DEP_2) | instskip(SKIP_2) | instid1(VALU_DEP_4)
	v_add_f64 v[10:11], v[33:34], v[10:11]
	v_mul_f64 v[33:34], v[54:55], s[16:17]
	v_mul_f64 v[54:55], v[6:7], s[18:19]
	v_add_f64 v[23:24], v[31:32], v[23:24]
	v_fma_f64 v[31:32], v[213:214], s[14:15], -v[60:61]
	s_delay_alu instid0(VALU_DEP_4) | instskip(NEXT) | instid1(VALU_DEP_4)
	v_fma_f64 v[35:36], v[199:200], s[8:9], -v[33:34]
	v_fma_f64 v[6:7], v[209:210], s[14:15], -v[54:55]
	v_fma_f64 v[25:26], v[199:200], s[8:9], v[33:34]
	v_fma_f64 v[29:30], v[209:210], s[14:15], v[54:55]
	s_delay_alu instid0(VALU_DEP_4) | instskip(SKIP_1) | instid1(VALU_DEP_4)
	v_add_f64 v[8:9], v[35:36], v[8:9]
	v_mul_f64 v[35:36], v[4:5], s[16:17]
	v_add_f64 v[21:22], v[25:26], v[21:22]
	s_delay_alu instid0(VALU_DEP_3) | instskip(NEXT) | instid1(VALU_DEP_3)
	v_add_f64 v[6:7], v[6:7], v[8:9]
	v_fma_f64 v[4:5], v[203:204], s[8:9], v[35:36]
	v_fma_f64 v[8:9], v[213:214], s[14:15], v[60:61]
	v_fma_f64 v[27:28], v[203:204], s[8:9], -v[35:36]
	s_delay_alu instid0(VALU_DEP_3) | instskip(SKIP_1) | instid1(VALU_DEP_3)
	v_add_f64 v[4:5], v[4:5], v[10:11]
	v_add_f64 v[10:11], v[185:186], v[68:69]
	;; [unrolled: 1-line block ×3, first 2 shown]
	s_delay_alu instid0(VALU_DEP_3) | instskip(SKIP_1) | instid1(VALU_DEP_4)
	v_add_f64 v[4:5], v[8:9], v[4:5]
	v_add_f64 v[8:9], v[168:169], v[58:59]
	;; [unrolled: 1-line block ×3, first 2 shown]
	s_delay_alu instid0(VALU_DEP_2) | instskip(NEXT) | instid1(VALU_DEP_2)
	v_add_f64 v[8:9], v[8:9], v[78:79]
	v_add_f64 v[10:11], v[10:11], v[82:83]
	s_delay_alu instid0(VALU_DEP_2) | instskip(NEXT) | instid1(VALU_DEP_2)
	v_add_f64 v[8:9], v[8:9], v[84:85]
	v_add_f64 v[10:11], v[10:11], v[106:107]
	;; [unrolled: 3-line block ×5, first 2 shown]
	s_delay_alu instid0(VALU_DEP_2)
	v_add_f64 v[8:9], v[8:9], v[42:43]
	v_add_f64 v[42:43], v[29:30], v[21:22]
	scratch_load_b32 v21, off, off offset:160 ; 4-byte Folded Reload
	v_add_f64 v[10:11], v[10:11], v[72:73]
	s_waitcnt vmcnt(1)
	v_mul_u32_u24_e32 v19, 0x4e, v19
	v_add_f64 v[8:9], v[8:9], v[74:75]
	s_delay_alu instid0(VALU_DEP_3) | instskip(NEXT) | instid1(VALU_DEP_2)
	v_add_f64 v[10:11], v[10:11], v[64:65]
	v_add_f64 v[8:9], v[8:9], v[66:67]
	s_delay_alu instid0(VALU_DEP_2) | instskip(NEXT) | instid1(VALU_DEP_2)
	v_add_f64 v[39:40], v[10:11], v[48:49]
	v_add_f64 v[8:9], v[8:9], v[56:57]
	s_delay_alu instid0(VALU_DEP_1) | instskip(NEXT) | instid1(VALU_DEP_3)
	v_add_f64 v[10:11], v[8:9], v[52:53]
	v_add_f64 v[8:9], v[39:40], v[50:51]
	;; [unrolled: 1-line block ×3, first 2 shown]
	s_waitcnt vmcnt(0)
	v_add_nc_u32_e32 v19, v19, v21
	s_delay_alu instid0(VALU_DEP_1)
	v_lshl_add_u32 v19, v19, 4, v241
	ds_store_b128 v19, v[154:157] offset:192
	ds_store_b128 v19, v[158:161] offset:288
	;; [unrolled: 1-line block ×11, first 2 shown]
	ds_store_b128 v19, v[8:11]
	ds_store_b128 v19, v[40:43] offset:1152
.LBB0_17:
	s_or_b32 exec_lo, exec_lo, s33
	s_waitcnt lgkmcnt(0)
	s_barrier
	buffer_gl0_inv
	ds_load_b128 v[0:3], v20 offset:2496
	ds_load_b128 v[4:7], v20 offset:4992
	;; [unrolled: 1-line block ×8, first 2 shown]
	s_mov_b32 s0, 0x134454ff
	s_mov_b32 s1, 0xbfee6f0e
	;; [unrolled: 1-line block ×4, first 2 shown]
	s_waitcnt lgkmcnt(7)
	v_mul_f64 v[27:28], v[94:95], v[0:1]
	s_waitcnt lgkmcnt(6)
	v_mul_f64 v[23:24], v[98:99], v[6:7]
	;; [unrolled: 2-line block ×3, first 2 shown]
	v_mul_f64 v[31:32], v[98:99], v[4:5]
	v_mul_f64 v[33:34], v[102:103], v[8:9]
	;; [unrolled: 1-line block ×3, first 2 shown]
	s_waitcnt lgkmcnt(4)
	v_mul_f64 v[29:30], v[110:111], v[17:18]
	v_mul_f64 v[35:36], v[110:111], v[15:16]
	s_waitcnt lgkmcnt(3)
	v_mul_f64 v[37:38], v[94:95], v[42:43]
	s_waitcnt lgkmcnt(2)
	;; [unrolled: 2-line block ×3, first 2 shown]
	v_mul_f64 v[58:59], v[102:103], v[50:51]
	v_mul_f64 v[60:61], v[98:99], v[44:45]
	;; [unrolled: 1-line block ×3, first 2 shown]
	s_waitcnt lgkmcnt(0)
	v_mul_f64 v[62:63], v[110:111], v[54:55]
	v_mul_f64 v[66:67], v[94:95], v[40:41]
	;; [unrolled: 1-line block ×3, first 2 shown]
	v_fma_f64 v[23:24], v[96:97], v[4:5], v[23:24]
	v_fma_f64 v[8:9], v[100:101], v[8:9], v[25:26]
	v_fma_f64 v[25:26], v[92:93], v[2:3], -v[27:28]
	v_fma_f64 v[27:28], v[96:97], v[6:7], -v[31:32]
	;; [unrolled: 1-line block ×3, first 2 shown]
	v_fma_f64 v[21:22], v[92:93], v[0:1], v[21:22]
	v_fma_f64 v[15:16], v[108:109], v[15:16], v[29:30]
	v_fma_f64 v[17:18], v[108:109], v[17:18], -v[35:36]
	v_fma_f64 v[29:30], v[92:93], v[40:41], v[37:38]
	v_fma_f64 v[31:32], v[96:97], v[44:45], v[56:57]
	;; [unrolled: 1-line block ×3, first 2 shown]
	v_fma_f64 v[35:36], v[96:97], v[46:47], -v[60:61]
	v_fma_f64 v[39:40], v[100:101], v[50:51], -v[64:65]
	v_fma_f64 v[37:38], v[108:109], v[52:53], v[62:63]
	v_fma_f64 v[41:42], v[92:93], v[42:43], -v[66:67]
	v_fma_f64 v[43:44], v[108:109], v[54:55], -v[68:69]
	ds_load_b128 v[0:3], v20
	ds_load_b128 v[4:7], v20 offset:1248
	s_waitcnt lgkmcnt(0)
	s_barrier
	buffer_gl0_inv
	v_add_f64 v[45:46], v[23:24], v[8:9]
	v_add_f64 v[67:68], v[2:3], v[25:26]
	v_add_f64 v[83:84], v[25:26], -v[27:28]
	v_add_f64 v[49:50], v[27:28], v[10:11]
	v_add_f64 v[61:62], v[0:1], v[21:22]
	;; [unrolled: 1-line block ×4, first 2 shown]
	v_add_f64 v[63:64], v[25:26], -v[17:18]
	v_add_f64 v[69:70], v[4:5], v[29:30]
	v_add_f64 v[53:54], v[31:32], v[33:34]
	v_add_f64 v[73:74], v[21:22], -v[15:16]
	v_add_f64 v[57:58], v[35:36], v[39:40]
	v_add_f64 v[55:56], v[29:30], v[37:38]
	;; [unrolled: 3-line block ×3, first 2 shown]
	v_add_f64 v[75:76], v[41:42], -v[43:44]
	v_add_f64 v[77:78], v[29:30], -v[37:38]
	;; [unrolled: 1-line block ×15, first 2 shown]
	v_fma_f64 v[45:46], v[45:46], -0.5, v[0:1]
	v_add_f64 v[27:28], v[67:68], v[27:28]
	v_fma_f64 v[49:50], v[49:50], -0.5, v[2:3]
	v_fma_f64 v[0:1], v[47:48], -0.5, v[0:1]
	v_add_f64 v[47:48], v[23:24], -v[8:9]
	v_fma_f64 v[2:3], v[51:52], -0.5, v[2:3]
	v_add_f64 v[51:52], v[35:36], -v[39:40]
	v_fma_f64 v[53:54], v[53:54], -0.5, v[4:5]
	v_fma_f64 v[57:58], v[57:58], -0.5, v[6:7]
	;; [unrolled: 1-line block ×3, first 2 shown]
	v_add_f64 v[55:56], v[31:32], -v[33:34]
	v_fma_f64 v[6:7], v[59:60], -0.5, v[6:7]
	v_add_f64 v[59:60], v[21:22], -v[23:24]
	v_add_f64 v[21:22], v[23:24], -v[21:22]
	v_add_f64 v[23:24], v[61:62], v[23:24]
	v_add_f64 v[31:32], v[69:70], v[31:32]
	;; [unrolled: 1-line block ×5, first 2 shown]
	v_fma_f64 v[61:62], v[63:64], s[0:1], v[45:46]
	v_fma_f64 v[45:46], v[63:64], s[8:9], v[45:46]
	v_add_f64 v[10:11], v[27:28], v[10:11]
	v_fma_f64 v[69:70], v[73:74], s[8:9], v[49:50]
	v_fma_f64 v[49:50], v[73:74], s[0:1], v[49:50]
	;; [unrolled: 1-line block ×14, first 2 shown]
	s_mov_b32 s0, 0x4755a5e
	s_mov_b32 s1, 0xbfe2cf23
	s_mov_b32 s9, 0x3fe2cf23
	s_mov_b32 s8, s0
	v_add_f64 v[8:9], v[23:24], v[8:9]
	v_add_f64 v[59:60], v[59:60], v[79:80]
	;; [unrolled: 1-line block ×9, first 2 shown]
	v_fma_f64 v[31:32], v[65:66], s[0:1], v[61:62]
	v_fma_f64 v[33:34], v[65:66], s[8:9], v[45:46]
	;; [unrolled: 1-line block ×16, first 2 shown]
	s_mov_b32 s0, 0x372fe950
	s_mov_b32 s1, 0x3fd3c6ef
	v_add_f64 v[2:3], v[10:11], v[17:18]
	s_mul_i32 s8, s4, 0xffffec80
	v_add_f64 v[0:1], v[8:9], v[15:16]
	v_add_f64 v[4:5], v[23:24], v[37:38]
	v_add_f64 v[6:7], v[27:28], v[43:44]
	v_fma_f64 v[8:9], v[59:60], s[0:1], v[31:32]
	v_fma_f64 v[15:16], v[59:60], s[0:1], v[33:34]
	;; [unrolled: 1-line block ×16, first 2 shown]
	s_mul_i32 s0, s5, 0x1860
	s_mul_hi_u32 s1, s4, 0x1860
	ds_store_b128 v20, v[0:3]
	ds_store_b128 v20, v[8:11] offset:1248
	ds_store_b128 v20, v[40:43] offset:2496
	;; [unrolled: 1-line block ×9, first 2 shown]
	s_waitcnt lgkmcnt(0)
	s_barrier
	buffer_gl0_inv
	ds_load_b128 v[0:3], v20 offset:6240
	ds_load_b128 v[4:7], v20 offset:7488
	;; [unrolled: 1-line block ×6, first 2 shown]
	s_add_i32 s9, s1, s0
	s_waitcnt lgkmcnt(5)
	v_mul_f64 v[21:22], v[118:119], v[2:3]
	v_mul_f64 v[23:24], v[118:119], v[0:1]
	s_waitcnt lgkmcnt(4)
	v_mul_f64 v[25:26], v[122:123], v[6:7]
	v_mul_f64 v[27:28], v[122:123], v[4:5]
	s_waitcnt lgkmcnt(3)
	v_mul_f64 v[29:30], v[130:131], v[10:11]
	v_mul_f64 v[31:32], v[130:131], v[8:9]
	s_waitcnt lgkmcnt(2)
	v_mul_f64 v[33:34], v[126:127], v[17:18]
	v_mul_f64 v[35:36], v[126:127], v[15:16]
	s_waitcnt lgkmcnt(1)
	v_mul_f64 v[37:38], v[134:135], v[42:43]
	v_mul_f64 v[48:49], v[134:135], v[40:41]
	v_fma_f64 v[21:22], v[116:117], v[0:1], v[21:22]
	v_fma_f64 v[23:24], v[116:117], v[2:3], -v[23:24]
	v_fma_f64 v[25:26], v[120:121], v[4:5], v[25:26]
	v_fma_f64 v[27:28], v[120:121], v[6:7], -v[27:28]
	;; [unrolled: 2-line block ×5, first 2 shown]
	ds_load_b128 v[0:3], v20
	ds_load_b128 v[4:7], v20 offset:1248
	ds_load_b128 v[8:11], v20 offset:2496
	;; [unrolled: 1-line block ×3, first 2 shown]
	s_waitcnt lgkmcnt(3)
	v_add_f64 v[40:41], v[0:1], -v[21:22]
	v_add_f64 v[42:43], v[2:3], -v[23:24]
	s_waitcnt lgkmcnt(2)
	v_add_f64 v[48:49], v[4:5], -v[25:26]
	v_add_f64 v[50:51], v[6:7], -v[27:28]
	s_waitcnt lgkmcnt(1)
	v_add_f64 v[52:53], v[8:9], -v[29:30]
	v_add_f64 v[54:55], v[10:11], -v[31:32]
	s_waitcnt lgkmcnt(0)
	v_add_f64 v[56:57], v[15:16], -v[33:34]
	v_add_f64 v[58:59], v[17:18], -v[35:36]
	v_add_f64 v[60:61], v[44:45], -v[37:38]
	v_add_f64 v[62:63], v[46:47], -v[62:63]
	v_mad_u64_u32 v[24:25], null, s6, v184, 0
	v_mad_u64_u32 v[26:27], null, s4, v255, 0
	s_mul_i32 s6, s4, 0x1860
	s_delay_alu instid0(VALU_DEP_1) | instskip(SKIP_1) | instid1(SALU_CYCLE_1)
	v_mad_u64_u32 v[28:29], null, s7, v184, v[25:26]
	s_mul_hi_u32 s7, s4, 0xffffec80
	s_sub_i32 s0, s7, s4
	s_delay_alu instid0(VALU_DEP_1) | instskip(NEXT) | instid1(VALU_DEP_3)
	v_mov_b32_e32 v25, v28
	v_mad_u64_u32 v[86:87], null, s5, v255, v[27:28]
	s_mulk_i32 s5, 0xec80
	s_delay_alu instid0(VALU_DEP_2) | instskip(NEXT) | instid1(VALU_DEP_2)
	v_lshlrev_b64 v[24:25], 4, v[24:25]
	v_mov_b32_e32 v27, v86
	v_fma_f64 v[0:1], v[0:1], 2.0, -v[40:41]
	v_fma_f64 v[2:3], v[2:3], 2.0, -v[42:43]
	;; [unrolled: 1-line block ×10, first 2 shown]
	v_add_co_u32 v86, vcc_lo, s2, v24
	v_add_co_ci_u32_e32 v87, vcc_lo, s3, v25, vcc_lo
	v_lshlrev_b64 v[26:27], 4, v[26:27]
	s_add_i32 s2, s0, s5
	s_mov_b32 s0, 0x15015015
	s_mov_b32 s1, 0x3f550150
	ds_store_b128 v20, v[48:51] offset:7488
	ds_store_b128 v14, v[52:55] offset:6240
	;; [unrolled: 1-line block ×4, first 2 shown]
	ds_store_b128 v20, v[0:3]
	ds_store_b128 v20, v[4:7] offset:1248
	ds_store_b128 v20, v[8:11] offset:2496
	;; [unrolled: 1-line block ×5, first 2 shown]
	s_waitcnt lgkmcnt(0)
	s_barrier
	buffer_gl0_inv
	ds_load_b128 v[0:3], v20
	ds_load_b128 v[4:7], v20 offset:6240
	ds_load_b128 v[8:11], v20 offset:1248
	;; [unrolled: 1-line block ×9, first 2 shown]
	s_clause 0x2
	scratch_load_b128 v[88:91], off, off
	scratch_load_b128 v[98:101], off, off offset:64
	scratch_load_b128 v[104:107], off, off offset:96
	s_waitcnt vmcnt(2) lgkmcnt(9)
	v_mul_f64 v[29:30], v[90:91], v[2:3]
	v_mul_f64 v[31:32], v[90:91], v[0:1]
	scratch_load_b128 v[90:93], off, off offset:16 ; 16-byte Folded Reload
	s_waitcnt vmcnt(2) lgkmcnt(8)
	v_mul_f64 v[33:34], v[100:101], v[6:7]
	v_mul_f64 v[35:36], v[100:101], v[4:5]
	scratch_load_b128 v[100:103], off, off offset:80 ; 16-byte Folded Reload
	v_fma_f64 v[0:1], v[88:89], v[0:1], v[29:30]
	v_fma_f64 v[2:3], v[88:89], v[2:3], -v[31:32]
	v_fma_f64 v[4:5], v[98:99], v[4:5], v[33:34]
	v_fma_f64 v[6:7], v[98:99], v[6:7], -v[35:36]
	s_delay_alu instid0(VALU_DEP_4) | instskip(NEXT) | instid1(VALU_DEP_4)
	v_mul_f64 v[0:1], v[0:1], s[0:1]
	v_mul_f64 v[2:3], v[2:3], s[0:1]
	s_delay_alu instid0(VALU_DEP_4) | instskip(NEXT) | instid1(VALU_DEP_4)
	v_mul_f64 v[4:5], v[4:5], s[0:1]
	v_mul_f64 v[6:7], v[6:7], s[0:1]
	s_waitcnt vmcnt(1) lgkmcnt(7)
	v_mul_f64 v[37:38], v[92:93], v[10:11]
	v_mul_f64 v[56:57], v[92:93], v[8:9]
	scratch_load_b128 v[92:95], off, off offset:32 ; 16-byte Folded Reload
	s_waitcnt lgkmcnt(6)
	v_mul_f64 v[58:59], v[106:107], v[14:15]
	v_mul_f64 v[60:61], v[106:107], v[12:13]
	s_waitcnt vmcnt(1) lgkmcnt(4)
	v_mul_f64 v[66:67], v[102:103], v[42:43]
	v_mul_f64 v[68:69], v[102:103], v[40:41]
	scratch_load_b128 v[106:109], off, off offset:112 ; 16-byte Folded Reload
	v_fma_f64 v[8:9], v[90:91], v[8:9], v[37:38]
	v_fma_f64 v[10:11], v[90:91], v[10:11], -v[56:57]
	v_fma_f64 v[12:13], v[104:105], v[12:13], v[58:59]
	v_fma_f64 v[14:15], v[104:105], v[14:15], -v[60:61]
	;; [unrolled: 2-line block ×3, first 2 shown]
	v_mul_f64 v[8:9], v[8:9], s[0:1]
	v_mul_f64 v[10:11], v[10:11], s[0:1]
	;; [unrolled: 1-line block ×4, first 2 shown]
	s_waitcnt vmcnt(1)
	v_mul_f64 v[62:63], v[94:95], v[18:19]
	v_mul_f64 v[64:65], v[94:95], v[16:17]
	scratch_load_b128 v[94:97], off, off offset:48 ; 16-byte Folded Reload
	s_waitcnt vmcnt(1) lgkmcnt(2)
	v_mul_f64 v[74:75], v[108:109], v[50:51]
	v_mul_f64 v[76:77], v[108:109], v[48:49]
	scratch_load_b128 v[108:111], off, off offset:128 ; 16-byte Folded Reload
	v_fma_f64 v[16:17], v[92:93], v[16:17], v[62:63]
	v_fma_f64 v[18:19], v[92:93], v[18:19], -v[64:65]
	v_fma_f64 v[34:35], v[106:107], v[48:49], v[74:75]
	v_fma_f64 v[36:37], v[106:107], v[50:51], -v[76:77]
	s_delay_alu instid0(VALU_DEP_4) | instskip(NEXT) | instid1(VALU_DEP_4)
	v_mul_f64 v[16:17], v[16:17], s[0:1]
	v_mul_f64 v[18:19], v[18:19], s[0:1]
	s_waitcnt vmcnt(1)
	v_mul_f64 v[70:71], v[96:97], v[46:47]
	v_mul_f64 v[72:73], v[96:97], v[44:45]
	s_waitcnt vmcnt(0) lgkmcnt(1)
	v_mul_f64 v[78:79], v[110:111], v[54:55]
	v_mul_f64 v[80:81], v[110:111], v[52:53]
	scratch_load_b128 v[110:113], off, off offset:144 ; 16-byte Folded Reload
	v_fma_f64 v[30:31], v[94:95], v[44:45], v[70:71]
	v_fma_f64 v[32:33], v[94:95], v[46:47], -v[72:73]
	v_add_co_u32 v46, vcc_lo, v86, v26
	v_add_co_ci_u32_e32 v47, vcc_lo, v87, v27, vcc_lo
	v_fma_f64 v[38:39], v[108:109], v[52:53], v[78:79]
	v_fma_f64 v[40:41], v[108:109], v[54:55], -v[80:81]
	s_delay_alu instid0(VALU_DEP_4) | instskip(NEXT) | instid1(VALU_DEP_4)
	v_add_co_u32 v48, vcc_lo, v46, s6
	v_add_co_ci_u32_e32 v49, vcc_lo, s9, v47, vcc_lo
	s_delay_alu instid0(VALU_DEP_2) | instskip(NEXT) | instid1(VALU_DEP_2)
	v_add_co_u32 v50, vcc_lo, v48, s8
	v_add_co_ci_u32_e32 v51, vcc_lo, s2, v49, vcc_lo
	s_delay_alu instid0(VALU_DEP_2) | instskip(NEXT) | instid1(VALU_DEP_2)
	v_add_co_u32 v52, vcc_lo, v50, s6
	v_add_co_ci_u32_e32 v53, vcc_lo, s9, v51, vcc_lo
	v_mul_f64 v[26:27], v[32:33], s[0:1]
	v_mul_f64 v[32:33], v[38:39], s[0:1]
	s_waitcnt vmcnt(0) lgkmcnt(0)
	v_mul_f64 v[82:83], v[112:113], v[22:23]
	v_mul_f64 v[84:85], v[112:113], v[20:21]
	s_delay_alu instid0(VALU_DEP_2) | instskip(NEXT) | instid1(VALU_DEP_2)
	v_fma_f64 v[42:43], v[110:111], v[20:21], v[82:83]
	v_fma_f64 v[44:45], v[110:111], v[22:23], -v[84:85]
	v_mul_f64 v[20:21], v[24:25], s[0:1]
	v_mul_f64 v[22:23], v[28:29], s[0:1]
	;; [unrolled: 1-line block ×6, first 2 shown]
	v_add_co_u32 v40, vcc_lo, v52, s8
	v_add_co_ci_u32_e32 v41, vcc_lo, s2, v53, vcc_lo
	v_mul_f64 v[36:37], v[42:43], s[0:1]
	v_mul_f64 v[38:39], v[44:45], s[0:1]
	s_delay_alu instid0(VALU_DEP_4) | instskip(NEXT) | instid1(VALU_DEP_4)
	v_add_co_u32 v42, vcc_lo, v40, s6
	v_add_co_ci_u32_e32 v43, vcc_lo, s9, v41, vcc_lo
	s_delay_alu instid0(VALU_DEP_2) | instskip(NEXT) | instid1(VALU_DEP_2)
	v_add_co_u32 v44, vcc_lo, v42, s8
	v_add_co_ci_u32_e32 v45, vcc_lo, s2, v43, vcc_lo
	s_delay_alu instid0(VALU_DEP_2) | instskip(NEXT) | instid1(VALU_DEP_2)
	;; [unrolled: 3-line block ×4, first 2 shown]
	v_add_co_u32 v58, vcc_lo, v56, s6
	v_add_co_ci_u32_e32 v59, vcc_lo, s9, v57, vcc_lo
	s_clause 0x4
	global_store_b128 v[46:47], v[0:3], off
	global_store_b128 v[48:49], v[4:7], off
	;; [unrolled: 1-line block ×10, first 2 shown]
.LBB0_18:
	s_nop 0
	s_sendmsg sendmsg(MSG_DEALLOC_VGPRS)
	s_endpgm
	.section	.rodata,"a",@progbits
	.p2align	6, 0x0
	.amdhsa_kernel bluestein_single_back_len780_dim1_dp_op_CI_CI
		.amdhsa_group_segment_fixed_size 37440
		.amdhsa_private_segment_fixed_size 316
		.amdhsa_kernarg_size 104
		.amdhsa_user_sgpr_count 15
		.amdhsa_user_sgpr_dispatch_ptr 0
		.amdhsa_user_sgpr_queue_ptr 0
		.amdhsa_user_sgpr_kernarg_segment_ptr 1
		.amdhsa_user_sgpr_dispatch_id 0
		.amdhsa_user_sgpr_private_segment_size 0
		.amdhsa_wavefront_size32 1
		.amdhsa_uses_dynamic_stack 0
		.amdhsa_enable_private_segment 1
		.amdhsa_system_sgpr_workgroup_id_x 1
		.amdhsa_system_sgpr_workgroup_id_y 0
		.amdhsa_system_sgpr_workgroup_id_z 0
		.amdhsa_system_sgpr_workgroup_info 0
		.amdhsa_system_vgpr_workitem_id 0
		.amdhsa_next_free_vgpr 256
		.amdhsa_next_free_sgpr 50
		.amdhsa_reserve_vcc 1
		.amdhsa_float_round_mode_32 0
		.amdhsa_float_round_mode_16_64 0
		.amdhsa_float_denorm_mode_32 3
		.amdhsa_float_denorm_mode_16_64 3
		.amdhsa_dx10_clamp 1
		.amdhsa_ieee_mode 1
		.amdhsa_fp16_overflow 0
		.amdhsa_workgroup_processor_mode 1
		.amdhsa_memory_ordered 1
		.amdhsa_forward_progress 0
		.amdhsa_shared_vgpr_count 0
		.amdhsa_exception_fp_ieee_invalid_op 0
		.amdhsa_exception_fp_denorm_src 0
		.amdhsa_exception_fp_ieee_div_zero 0
		.amdhsa_exception_fp_ieee_overflow 0
		.amdhsa_exception_fp_ieee_underflow 0
		.amdhsa_exception_fp_ieee_inexact 0
		.amdhsa_exception_int_div_zero 0
	.end_amdhsa_kernel
	.text
.Lfunc_end0:
	.size	bluestein_single_back_len780_dim1_dp_op_CI_CI, .Lfunc_end0-bluestein_single_back_len780_dim1_dp_op_CI_CI
                                        ; -- End function
	.section	.AMDGPU.csdata,"",@progbits
; Kernel info:
; codeLenInByte = 20700
; NumSgprs: 52
; NumVgprs: 256
; ScratchSize: 316
; MemoryBound: 0
; FloatMode: 240
; IeeeMode: 1
; LDSByteSize: 37440 bytes/workgroup (compile time only)
; SGPRBlocks: 6
; VGPRBlocks: 31
; NumSGPRsForWavesPerEU: 52
; NumVGPRsForWavesPerEU: 256
; Occupancy: 5
; WaveLimiterHint : 1
; COMPUTE_PGM_RSRC2:SCRATCH_EN: 1
; COMPUTE_PGM_RSRC2:USER_SGPR: 15
; COMPUTE_PGM_RSRC2:TRAP_HANDLER: 0
; COMPUTE_PGM_RSRC2:TGID_X_EN: 1
; COMPUTE_PGM_RSRC2:TGID_Y_EN: 0
; COMPUTE_PGM_RSRC2:TGID_Z_EN: 0
; COMPUTE_PGM_RSRC2:TIDIG_COMP_CNT: 0
	.text
	.p2alignl 7, 3214868480
	.fill 96, 4, 3214868480
	.type	__hip_cuid_8b048357cea06b80,@object ; @__hip_cuid_8b048357cea06b80
	.section	.bss,"aw",@nobits
	.globl	__hip_cuid_8b048357cea06b80
__hip_cuid_8b048357cea06b80:
	.byte	0                               ; 0x0
	.size	__hip_cuid_8b048357cea06b80, 1

	.ident	"AMD clang version 19.0.0git (https://github.com/RadeonOpenCompute/llvm-project roc-6.4.0 25133 c7fe45cf4b819c5991fe208aaa96edf142730f1d)"
	.section	".note.GNU-stack","",@progbits
	.addrsig
	.addrsig_sym __hip_cuid_8b048357cea06b80
	.amdgpu_metadata
---
amdhsa.kernels:
  - .args:
      - .actual_access:  read_only
        .address_space:  global
        .offset:         0
        .size:           8
        .value_kind:     global_buffer
      - .actual_access:  read_only
        .address_space:  global
        .offset:         8
        .size:           8
        .value_kind:     global_buffer
      - .actual_access:  read_only
        .address_space:  global
        .offset:         16
        .size:           8
        .value_kind:     global_buffer
      - .actual_access:  read_only
        .address_space:  global
        .offset:         24
        .size:           8
        .value_kind:     global_buffer
      - .actual_access:  read_only
        .address_space:  global
        .offset:         32
        .size:           8
        .value_kind:     global_buffer
      - .offset:         40
        .size:           8
        .value_kind:     by_value
      - .address_space:  global
        .offset:         48
        .size:           8
        .value_kind:     global_buffer
      - .address_space:  global
        .offset:         56
        .size:           8
        .value_kind:     global_buffer
      - .address_space:  global
        .offset:         64
        .size:           8
        .value_kind:     global_buffer
      - .address_space:  global
        .offset:         72
        .size:           8
        .value_kind:     global_buffer
      - .offset:         80
        .size:           4
        .value_kind:     by_value
      - .address_space:  global
        .offset:         88
        .size:           8
        .value_kind:     global_buffer
      - .address_space:  global
        .offset:         96
        .size:           8
        .value_kind:     global_buffer
    .group_segment_fixed_size: 37440
    .kernarg_segment_align: 8
    .kernarg_segment_size: 104
    .language:       OpenCL C
    .language_version:
      - 2
      - 0
    .max_flat_workgroup_size: 234
    .name:           bluestein_single_back_len780_dim1_dp_op_CI_CI
    .private_segment_fixed_size: 316
    .sgpr_count:     52
    .sgpr_spill_count: 0
    .symbol:         bluestein_single_back_len780_dim1_dp_op_CI_CI.kd
    .uniform_work_group_size: 1
    .uses_dynamic_stack: false
    .vgpr_count:     256
    .vgpr_spill_count: 78
    .wavefront_size: 32
    .workgroup_processor_mode: 1
amdhsa.target:   amdgcn-amd-amdhsa--gfx1100
amdhsa.version:
  - 1
  - 2
...

	.end_amdgpu_metadata
